;; amdgpu-corpus repo=ROCm/rocFFT kind=compiled arch=gfx906 opt=O3
	.text
	.amdgcn_target "amdgcn-amd-amdhsa--gfx906"
	.amdhsa_code_object_version 6
	.protected	fft_rtc_back_len289_factors_17_17_wgs_119_tpt_17_dp_op_CI_CI_sbcc_twdbase5_3step ; -- Begin function fft_rtc_back_len289_factors_17_17_wgs_119_tpt_17_dp_op_CI_CI_sbcc_twdbase5_3step
	.globl	fft_rtc_back_len289_factors_17_17_wgs_119_tpt_17_dp_op_CI_CI_sbcc_twdbase5_3step
	.p2align	8
	.type	fft_rtc_back_len289_factors_17_17_wgs_119_tpt_17_dp_op_CI_CI_sbcc_twdbase5_3step,@function
fft_rtc_back_len289_factors_17_17_wgs_119_tpt_17_dp_op_CI_CI_sbcc_twdbase5_3step: ; @fft_rtc_back_len289_factors_17_17_wgs_119_tpt_17_dp_op_CI_CI_sbcc_twdbase5_3step
; %bb.0:
	s_load_dwordx8 s[8:15], s[4:5], 0x8
	s_load_dwordx2 s[30:31], s[4:5], 0x28
	s_movk_i32 s0, 0x60
	v_cmp_gt_u32_e32 vcc, s0, v0
	s_and_saveexec_b64 s[0:1], vcc
	s_cbranch_execz .LBB0_2
; %bb.1:
	v_lshlrev_b32_e32 v5, 4, v0
	s_waitcnt lgkmcnt(0)
	global_load_dwordx4 v[1:4], v5, s[8:9]
	v_add_u32_e32 v5, 0, v5
	v_add_u32_e32 v5, 0x7e70, v5
	s_waitcnt vmcnt(0)
	ds_write2_b64 v5, v[1:2], v[3:4] offset1:1
.LBB0_2:
	s_or_b64 exec, exec, s[0:1]
	s_waitcnt lgkmcnt(0)
	s_load_dwordx2 s[28:29], s[12:13], 0x8
	s_mov_b32 s7, 0
	s_waitcnt lgkmcnt(0)
	s_add_u32 s0, s28, -1
	s_addc_u32 s1, s29, -1
	s_add_u32 s2, 0, 0x92481000
	s_addc_u32 s3, 0, 0x64
	s_mul_hi_u32 s9, s2, -7
	s_add_i32 s3, s3, 0x249248c0
	s_sub_i32 s9, s9, s2
	s_mul_i32 s18, s3, -7
	s_mul_i32 s8, s2, -7
	s_add_i32 s9, s9, s18
	s_mul_hi_u32 s16, s3, s8
	s_mul_i32 s17, s3, s8
	s_mul_i32 s19, s2, s9
	s_mul_hi_u32 s8, s2, s8
	s_mul_hi_u32 s18, s2, s9
	s_add_u32 s8, s8, s19
	s_addc_u32 s18, 0, s18
	s_add_u32 s8, s8, s17
	s_mul_hi_u32 s19, s3, s9
	s_addc_u32 s8, s18, s16
	s_addc_u32 s16, s19, 0
	s_mul_i32 s9, s3, s9
	s_add_u32 s8, s8, s9
	v_mov_b32_e32 v1, s8
	s_addc_u32 s9, 0, s16
	v_add_co_u32_e32 v1, vcc, s2, v1
	s_cmp_lg_u64 vcc, 0
	s_addc_u32 s2, s3, s9
	v_readfirstlane_b32 s9, v1
	s_mul_i32 s8, s0, s2
	s_mul_hi_u32 s16, s0, s9
	s_mul_hi_u32 s3, s0, s2
	s_add_u32 s8, s16, s8
	s_addc_u32 s3, 0, s3
	s_mul_hi_u32 s17, s1, s9
	s_mul_i32 s9, s1, s9
	s_add_u32 s8, s8, s9
	s_mul_hi_u32 s16, s1, s2
	s_addc_u32 s3, s3, s17
	s_addc_u32 s8, s16, 0
	s_mul_i32 s2, s1, s2
	s_add_u32 s2, s3, s2
	s_addc_u32 s3, 0, s8
	s_add_u32 s8, s2, 1
	s_addc_u32 s9, s3, 0
	s_add_u32 s16, s2, 2
	s_mul_i32 s18, s3, 7
	s_mul_hi_u32 s19, s2, 7
	s_addc_u32 s17, s3, 0
	s_add_i32 s19, s19, s18
	s_mul_i32 s18, s2, 7
	v_mov_b32_e32 v1, s18
	v_sub_co_u32_e32 v1, vcc, s0, v1
	s_cmp_lg_u64 vcc, 0
	s_subb_u32 s0, s1, s19
	v_subrev_co_u32_e32 v2, vcc, 7, v1
	s_cmp_lg_u64 vcc, 0
	s_subb_u32 s1, s0, 0
	v_readfirstlane_b32 s18, v2
	s_cmp_gt_u32 s18, 6
	s_cselect_b32 s18, -1, 0
	s_cmp_eq_u32 s1, 0
	s_cselect_b32 s1, s18, -1
	s_cmp_lg_u32 s1, 0
	s_cselect_b32 s1, s16, s8
	s_cselect_b32 s8, s17, s9
	v_readfirstlane_b32 s9, v1
	s_cmp_gt_u32 s9, 6
	s_cselect_b32 s9, -1, 0
	s_cmp_eq_u32 s0, 0
	s_cselect_b32 s0, s9, -1
	s_cmp_lg_u32 s0, 0
	s_cselect_b32 s1, s1, s2
	s_cselect_b32 s0, s8, s3
	s_add_u32 s36, s1, 1
	s_addc_u32 s37, s0, 0
	v_mov_b32_e32 v1, s36
	v_mov_b32_e32 v2, s37
	v_cmp_lt_u64_e32 vcc, s[6:7], v[1:2]
	s_mov_b64 s[8:9], 0
	s_cbranch_vccnz .LBB0_4
; %bb.3:
	v_cvt_f32_u32_e32 v1, s36
	s_sub_i32 s0, 0, s36
	s_mov_b32 s9, s7
	v_rcp_iflag_f32_e32 v1, v1
	v_mul_f32_e32 v1, 0x4f7ffffe, v1
	v_cvt_u32_f32_e32 v1, v1
	v_readfirstlane_b32 s1, v1
	s_mul_i32 s0, s0, s1
	s_mul_hi_u32 s0, s1, s0
	s_add_i32 s1, s1, s0
	s_mul_hi_u32 s0, s6, s1
	s_mul_i32 s2, s0, s36
	s_sub_i32 s2, s6, s2
	s_add_i32 s1, s0, 1
	s_sub_i32 s3, s2, s36
	s_cmp_ge_u32 s2, s36
	s_cselect_b32 s0, s1, s0
	s_cselect_b32 s2, s3, s2
	s_add_i32 s1, s0, 1
	s_cmp_ge_u32 s2, s36
	s_cselect_b32 s8, s1, s0
.LBB0_4:
	s_mul_i32 s0, s8, s37
	s_mul_hi_u32 s1, s8, s36
	s_add_i32 s1, s1, s0
	s_mul_i32 s0, s8, s36
	s_load_dwordx4 s[20:23], s[4:5], 0x60
	s_load_dwordx2 s[64:65], s[4:5], 0x0
	s_load_dwordx4 s[24:27], s[14:15], 0x0
	s_load_dwordx4 s[16:19], s[30:31], 0x0
	s_sub_u32 s48, s6, s0
	s_subb_u32 s0, 0, s1
	s_mul_i32 s0, s0, 7
	s_mul_hi_u32 s33, s48, 7
	s_add_i32 s33, s33, s0
	s_mul_i32 s48, s48, 7
	s_waitcnt lgkmcnt(0)
	s_mul_i32 s0, s26, s33
	s_mul_hi_u32 s1, s26, s48
	s_add_i32 s0, s1, s0
	s_mul_i32 s1, s27, s48
	s_add_i32 s35, s0, s1
	s_mul_i32 s0, s18, s33
	s_mul_hi_u32 s1, s18, s48
	s_add_i32 s0, s1, s0
	s_mul_i32 s1, s19, s48
	s_add_i32 s3, s0, s1
	v_cmp_lt_u64_e64 s[0:1], s[10:11], 3
	s_mul_i32 s34, s26, s48
	s_mul_i32 s2, s18, s48
	s_and_b64 vcc, exec, s[0:1]
	s_cbranch_vccnz .LBB0_14
; %bb.5:
	s_add_u32 s4, s30, 16
	s_addc_u32 s5, s31, 0
	s_add_u32 s38, s14, 16
	s_addc_u32 s39, s15, 0
	s_add_u32 s12, s12, 16
	v_mov_b32_e32 v1, s10
	s_addc_u32 s13, s13, 0
	s_mov_b64 s[40:41], 2
	s_mov_b32 s42, 0
	v_mov_b32_e32 v2, s11
.LBB0_6:                                ; =>This Inner Loop Header: Depth=1
	s_load_dwordx2 s[44:45], s[12:13], 0x0
	s_waitcnt lgkmcnt(0)
	s_or_b64 s[0:1], s[8:9], s[44:45]
	s_mov_b32 s43, s1
	s_cmp_lg_u64 s[42:43], 0
	s_cbranch_scc0 .LBB0_11
; %bb.7:                                ;   in Loop: Header=BB0_6 Depth=1
	v_cvt_f32_u32_e32 v3, s44
	v_cvt_f32_u32_e32 v4, s45
	s_sub_u32 s0, 0, s44
	s_subb_u32 s1, 0, s45
	v_mac_f32_e32 v3, 0x4f800000, v4
	v_rcp_f32_e32 v3, v3
	v_mul_f32_e32 v3, 0x5f7ffffc, v3
	v_mul_f32_e32 v4, 0x2f800000, v3
	v_trunc_f32_e32 v4, v4
	v_mac_f32_e32 v3, 0xcf800000, v4
	v_cvt_u32_f32_e32 v4, v4
	v_cvt_u32_f32_e32 v3, v3
	v_readfirstlane_b32 s43, v4
	v_readfirstlane_b32 s46, v3
	s_mul_i32 s47, s0, s43
	s_mul_hi_u32 s50, s0, s46
	s_mul_i32 s49, s1, s46
	s_add_i32 s47, s50, s47
	s_mul_i32 s51, s0, s46
	s_add_i32 s47, s47, s49
	s_mul_hi_u32 s49, s46, s47
	s_mul_i32 s50, s46, s47
	s_mul_hi_u32 s46, s46, s51
	s_add_u32 s46, s46, s50
	s_addc_u32 s49, 0, s49
	s_mul_hi_u32 s52, s43, s51
	s_mul_i32 s51, s43, s51
	s_add_u32 s46, s46, s51
	s_mul_hi_u32 s50, s43, s47
	s_addc_u32 s46, s49, s52
	s_addc_u32 s49, s50, 0
	s_mul_i32 s47, s43, s47
	s_add_u32 s46, s46, s47
	s_addc_u32 s47, 0, s49
	v_add_co_u32_e32 v3, vcc, s46, v3
	s_cmp_lg_u64 vcc, 0
	s_addc_u32 s43, s43, s47
	v_readfirstlane_b32 s47, v3
	s_mul_i32 s46, s0, s43
	s_mul_hi_u32 s49, s0, s47
	s_add_i32 s46, s49, s46
	s_mul_i32 s1, s1, s47
	s_add_i32 s46, s46, s1
	s_mul_i32 s0, s0, s47
	s_mul_hi_u32 s49, s43, s0
	s_mul_i32 s50, s43, s0
	s_mul_i32 s52, s47, s46
	s_mul_hi_u32 s0, s47, s0
	s_mul_hi_u32 s51, s47, s46
	s_add_u32 s0, s0, s52
	s_addc_u32 s47, 0, s51
	s_add_u32 s0, s0, s50
	s_mul_hi_u32 s1, s43, s46
	s_addc_u32 s0, s47, s49
	s_addc_u32 s1, s1, 0
	s_mul_i32 s46, s43, s46
	s_add_u32 s0, s0, s46
	s_addc_u32 s1, 0, s1
	v_add_co_u32_e32 v3, vcc, s0, v3
	s_cmp_lg_u64 vcc, 0
	s_addc_u32 s0, s43, s1
	v_readfirstlane_b32 s46, v3
	s_mul_i32 s43, s8, s0
	s_mul_hi_u32 s47, s8, s46
	s_mul_hi_u32 s1, s8, s0
	s_add_u32 s43, s47, s43
	s_addc_u32 s1, 0, s1
	s_mul_hi_u32 s49, s9, s46
	s_mul_i32 s46, s9, s46
	s_add_u32 s43, s43, s46
	s_mul_hi_u32 s47, s9, s0
	s_addc_u32 s1, s1, s49
	s_addc_u32 s43, s47, 0
	s_mul_i32 s0, s9, s0
	s_add_u32 s46, s1, s0
	s_addc_u32 s43, 0, s43
	s_mul_i32 s0, s44, s43
	s_mul_hi_u32 s1, s44, s46
	s_add_i32 s0, s1, s0
	s_mul_i32 s1, s45, s46
	s_add_i32 s47, s0, s1
	s_mul_i32 s1, s44, s46
	v_mov_b32_e32 v3, s1
	s_sub_i32 s0, s9, s47
	v_sub_co_u32_e32 v3, vcc, s8, v3
	s_cmp_lg_u64 vcc, 0
	s_subb_u32 s49, s0, s45
	v_subrev_co_u32_e64 v4, s[0:1], s44, v3
	s_cmp_lg_u64 s[0:1], 0
	s_subb_u32 s0, s49, 0
	s_cmp_ge_u32 s0, s45
	v_readfirstlane_b32 s49, v4
	s_cselect_b32 s1, -1, 0
	s_cmp_ge_u32 s49, s44
	s_cselect_b32 s49, -1, 0
	s_cmp_eq_u32 s0, s45
	s_cselect_b32 s0, s49, s1
	s_add_u32 s1, s46, 1
	s_addc_u32 s49, s43, 0
	s_add_u32 s50, s46, 2
	s_addc_u32 s51, s43, 0
	s_cmp_lg_u32 s0, 0
	s_cselect_b32 s0, s50, s1
	s_cselect_b32 s1, s51, s49
	s_cmp_lg_u64 vcc, 0
	s_subb_u32 s47, s9, s47
	s_cmp_ge_u32 s47, s45
	v_readfirstlane_b32 s50, v3
	s_cselect_b32 s49, -1, 0
	s_cmp_ge_u32 s50, s44
	s_cselect_b32 s50, -1, 0
	s_cmp_eq_u32 s47, s45
	s_cselect_b32 s47, s50, s49
	s_cmp_lg_u32 s47, 0
	s_cselect_b32 s1, s1, s43
	s_cselect_b32 s0, s0, s46
	s_cbranch_execnz .LBB0_9
.LBB0_8:                                ;   in Loop: Header=BB0_6 Depth=1
	v_cvt_f32_u32_e32 v3, s44
	s_sub_i32 s0, 0, s44
	v_rcp_iflag_f32_e32 v3, v3
	v_mul_f32_e32 v3, 0x4f7ffffe, v3
	v_cvt_u32_f32_e32 v3, v3
	v_readfirstlane_b32 s1, v3
	s_mul_i32 s0, s0, s1
	s_mul_hi_u32 s0, s1, s0
	s_add_i32 s1, s1, s0
	s_mul_hi_u32 s0, s8, s1
	s_mul_i32 s43, s0, s44
	s_sub_i32 s43, s8, s43
	s_add_i32 s1, s0, 1
	s_sub_i32 s46, s43, s44
	s_cmp_ge_u32 s43, s44
	s_cselect_b32 s0, s1, s0
	s_cselect_b32 s43, s46, s43
	s_add_i32 s1, s0, 1
	s_cmp_ge_u32 s43, s44
	s_cselect_b32 s0, s1, s0
	s_mov_b32 s1, s42
.LBB0_9:                                ;   in Loop: Header=BB0_6 Depth=1
	s_mul_i32 s37, s44, s37
	s_mul_hi_u32 s43, s44, s36
	s_add_i32 s37, s43, s37
	s_mul_i32 s43, s45, s36
	s_add_i32 s37, s37, s43
	s_mul_i32 s43, s0, s45
	s_mul_hi_u32 s45, s0, s44
	s_load_dwordx2 s[46:47], s[38:39], 0x0
	s_add_i32 s43, s45, s43
	s_mul_i32 s45, s1, s44
	s_mul_i32 s36, s44, s36
	s_add_i32 s43, s43, s45
	s_mul_i32 s44, s0, s44
	s_sub_u32 s44, s8, s44
	s_subb_u32 s43, s9, s43
	s_waitcnt lgkmcnt(0)
	s_mul_i32 s8, s46, s43
	s_mul_hi_u32 s9, s46, s44
	s_add_i32 s45, s9, s8
	s_load_dwordx2 s[8:9], s[4:5], 0x0
	s_mul_i32 s47, s47, s44
	s_add_i32 s45, s45, s47
	s_mul_i32 s46, s46, s44
	s_add_u32 s34, s46, s34
	s_addc_u32 s35, s45, s35
	s_waitcnt lgkmcnt(0)
	s_mul_i32 s43, s8, s43
	s_mul_hi_u32 s45, s8, s44
	s_add_i32 s43, s45, s43
	s_mul_i32 s9, s9, s44
	s_add_i32 s43, s43, s9
	s_mul_i32 s8, s8, s44
	s_add_u32 s2, s8, s2
	s_addc_u32 s3, s43, s3
	s_add_u32 s40, s40, 1
	s_addc_u32 s41, s41, 0
	;; [unrolled: 2-line block ×4, first 2 shown]
	v_cmp_ge_u64_e32 vcc, s[40:41], v[1:2]
	s_add_u32 s12, s12, 8
	s_addc_u32 s13, s13, 0
	s_cbranch_vccnz .LBB0_12
; %bb.10:                               ;   in Loop: Header=BB0_6 Depth=1
	s_mov_b64 s[8:9], s[0:1]
	s_branch .LBB0_6
.LBB0_11:                               ;   in Loop: Header=BB0_6 Depth=1
                                        ; implicit-def: $sgpr0_sgpr1
	s_branch .LBB0_8
.LBB0_12:
	v_mov_b32_e32 v1, s36
	v_mov_b32_e32 v2, s37
	v_cmp_lt_u64_e32 vcc, s[6:7], v[1:2]
	s_mov_b64 s[8:9], 0
	s_cbranch_vccnz .LBB0_14
; %bb.13:
	v_cvt_f32_u32_e32 v1, s36
	s_sub_i32 s0, 0, s36
	v_rcp_iflag_f32_e32 v1, v1
	v_mul_f32_e32 v1, 0x4f7ffffe, v1
	v_cvt_u32_f32_e32 v1, v1
	v_readfirstlane_b32 s1, v1
	s_mul_i32 s0, s0, s1
	s_mul_hi_u32 s0, s1, s0
	s_add_i32 s1, s1, s0
	s_mul_hi_u32 s0, s6, s1
	s_mul_i32 s4, s0, s36
	s_sub_i32 s4, s6, s4
	s_add_i32 s1, s0, 1
	s_sub_i32 s5, s4, s36
	s_cmp_ge_u32 s4, s36
	s_cselect_b32 s0, s1, s0
	s_cselect_b32 s4, s5, s4
	s_add_i32 s1, s0, 1
	s_cmp_ge_u32 s4, s36
	s_cselect_b32 s8, s1, s0
.LBB0_14:
	s_lshl_b64 s[10:11], s[10:11], 3
	s_mov_b32 s1, 0x24924925
	s_add_u32 s4, s30, s10
	v_mul_hi_u32 v108, v0, s1
	s_addc_u32 s5, s31, s11
	s_add_u32 s0, s48, 7
	v_mov_b32_e32 v1, s28
	s_addc_u32 s1, s33, 0
	v_mov_b32_e32 v2, s29
	v_cmp_le_u64_e32 vcc, s[0:1], v[1:2]
	v_mul_u32_u24_e32 v1, 7, v108
	v_sub_u32_e32 v112, v0, v1
	v_mov_b32_e32 v2, s33
	v_add_co_u32_e64 v1, s[0:1], s48, v112
	v_addc_co_u32_e64 v2, s[0:1], 0, v2, s[0:1]
	v_cmp_gt_u64_e64 s[0:1], s[28:29], v[1:2]
	v_mov_b32_e32 v53, 0
	s_or_b64 s[0:1], vcc, s[0:1]
	v_lshlrev_b32_e32 v113, 4, v108
	v_add_u32_e32 v111, 17, v108
	v_add_u32_e32 v110, 34, v108
	;; [unrolled: 1-line block ×3, first 2 shown]
	s_and_saveexec_b64 s[6:7], s[0:1]
	s_cbranch_execz .LBB0_16
; %bb.15:
	s_add_u32 s10, s14, s10
	s_addc_u32 s11, s15, s11
	s_load_dwordx2 s[10:11], s[10:11], 0x0
	v_mad_u64_u32 v[1:2], s[12:13], s26, v112, 0
	v_mad_u64_u32 v[3:4], s[12:13], s24, v108, 0
	s_waitcnt lgkmcnt(0)
	s_mul_i32 s9, s11, s8
	s_mul_hi_u32 s11, s10, s8
	s_add_i32 s11, s11, s9
	s_mul_i32 s10, s10, s8
	v_mad_u64_u32 v[5:6], s[12:13], s27, v112, v[2:3]
	v_mov_b32_e32 v2, v4
	s_lshl_b64 s[10:11], s[10:11], 4
	v_mad_u64_u32 v[6:7], s[12:13], s25, v108, v[2:3]
	s_add_u32 s9, s20, s10
	s_addc_u32 s12, s21, s11
	s_lshl_b64 s[10:11], s[34:35], 4
	s_add_u32 s9, s9, s10
	s_addc_u32 s10, s12, s11
	v_mov_b32_e32 v2, v5
	v_mov_b32_e32 v4, v6
	;; [unrolled: 1-line block ×3, first 2 shown]
	v_mad_u64_u32 v[5:6], s[10:11], s24, v111, 0
	v_lshlrev_b64 v[1:2], 4, v[1:2]
	v_mad_u64_u32 v[11:12], s[10:11], s24, v110, 0
	v_add_co_u32_e32 v73, vcc, s9, v1
	v_addc_co_u32_e32 v74, vcc, v7, v2, vcc
	v_lshlrev_b64 v[1:2], 4, v[3:4]
	v_mov_b32_e32 v3, v6
	v_mad_u64_u32 v[3:4], s[10:11], s25, v111, v[3:4]
	v_add_co_u32_e32 v9, vcc, v73, v1
	v_mov_b32_e32 v6, v3
	v_addc_co_u32_e32 v10, vcc, v74, v2, vcc
	v_lshlrev_b64 v[1:2], 4, v[5:6]
	v_add_u32_e32 v27, 0x55, v108
	v_add_co_u32_e32 v13, vcc, v73, v1
	v_mov_b32_e32 v1, v12
	v_mad_u64_u32 v[15:16], s[10:11], s25, v110, v[1:2]
	v_mad_u64_u32 v[16:17], s[10:11], s24, v109, 0
	v_mov_b32_e32 v12, v15
	v_addc_co_u32_e32 v14, vcc, v74, v2, vcc
	global_load_dwordx4 v[1:4], v[9:10], off
	global_load_dwordx4 v[5:8], v[13:14], off
	v_lshlrev_b64 v[9:10], 4, v[11:12]
	v_mov_b32_e32 v11, v17
	v_mad_u64_u32 v[11:12], s[10:11], s25, v109, v[11:12]
	v_add_co_u32_e32 v18, vcc, v73, v9
	v_mov_b32_e32 v17, v11
	v_add_u32_e32 v11, 0x44, v108
	v_mad_u64_u32 v[20:21], s[10:11], s24, v11, 0
	v_addc_co_u32_e32 v19, vcc, v74, v10, vcc
	v_lshlrev_b64 v[9:10], 4, v[16:17]
	v_add_u32_e32 v34, 0x77, v108
	v_add_co_u32_e32 v22, vcc, v73, v9
	v_mov_b32_e32 v9, v21
	v_mad_u64_u32 v[24:25], s[10:11], s25, v11, v[9:10]
	v_mad_u64_u32 v[25:26], s[10:11], s24, v27, 0
	v_addc_co_u32_e32 v23, vcc, v74, v10, vcc
	global_load_dwordx4 v[9:12], v[18:19], off
	global_load_dwordx4 v[13:16], v[22:23], off
	v_mov_b32_e32 v21, v24
	v_mov_b32_e32 v19, v26
	v_lshlrev_b64 v[17:18], 4, v[20:21]
	v_mad_u64_u32 v[19:20], s[10:11], s25, v27, v[19:20]
	v_add_co_u32_e32 v27, vcc, v73, v17
	v_mov_b32_e32 v26, v19
	v_add_u32_e32 v19, 0x66, v108
	v_addc_co_u32_e32 v28, vcc, v74, v18, vcc
	v_lshlrev_b64 v[17:18], 4, v[25:26]
	v_mad_u64_u32 v[25:26], s[10:11], s24, v19, 0
	v_add_co_u32_e32 v29, vcc, v73, v17
	v_mov_b32_e32 v17, v26
	v_mad_u64_u32 v[31:32], s[10:11], s25, v19, v[17:18]
	v_mad_u64_u32 v[32:33], s[10:11], s24, v34, 0
	v_addc_co_u32_e32 v30, vcc, v74, v18, vcc
	global_load_dwordx4 v[17:20], v[27:28], off
	global_load_dwordx4 v[21:24], v[29:30], off
	v_mov_b32_e32 v27, v33
	v_mad_u64_u32 v[27:28], s[10:11], s25, v34, v[27:28]
	v_mov_b32_e32 v26, v31
	v_lshlrev_b64 v[25:26], 4, v[25:26]
	v_mov_b32_e32 v33, v27
	v_add_u32_e32 v27, 0x88, v108
	v_mad_u64_u32 v[36:37], s[10:11], s24, v27, 0
	v_add_co_u32_e32 v34, vcc, v73, v25
	v_addc_co_u32_e32 v35, vcc, v74, v26, vcc
	v_lshlrev_b64 v[25:26], 4, v[32:33]
	v_add_u32_e32 v43, 0x99, v108
	v_add_co_u32_e32 v38, vcc, v73, v25
	v_mov_b32_e32 v25, v37
	v_mad_u64_u32 v[40:41], s[10:11], s25, v27, v[25:26]
	v_mad_u64_u32 v[41:42], s[10:11], s24, v43, 0
	v_addc_co_u32_e32 v39, vcc, v74, v26, vcc
	global_load_dwordx4 v[25:28], v[34:35], off
	global_load_dwordx4 v[29:32], v[38:39], off
	v_mov_b32_e32 v37, v40
	v_mov_b32_e32 v35, v42
	v_lshlrev_b64 v[33:34], 4, v[36:37]
	v_mad_u64_u32 v[35:36], s[10:11], s25, v43, v[35:36]
	v_add_co_u32_e32 v43, vcc, v73, v33
	v_mov_b32_e32 v42, v35
	v_add_u32_e32 v35, 0xaa, v108
	v_addc_co_u32_e32 v44, vcc, v74, v34, vcc
	v_lshlrev_b64 v[33:34], 4, v[41:42]
	v_mad_u64_u32 v[41:42], s[10:11], s24, v35, 0
	v_add_co_u32_e32 v45, vcc, v73, v33
	v_mov_b32_e32 v33, v42
	v_mad_u64_u32 v[47:48], s[10:11], s25, v35, v[33:34]
	v_add_u32_e32 v50, 0xbb, v108
	v_mad_u64_u32 v[48:49], s[10:11], s24, v50, 0
	v_addc_co_u32_e32 v46, vcc, v74, v34, vcc
	global_load_dwordx4 v[33:36], v[43:44], off
	global_load_dwordx4 v[37:40], v[45:46], off
	v_mov_b32_e32 v43, v49
	v_mad_u64_u32 v[43:44], s[10:11], s25, v50, v[43:44]
	v_mov_b32_e32 v42, v47
	v_lshlrev_b64 v[41:42], 4, v[41:42]
	v_mov_b32_e32 v49, v43
	v_add_u32_e32 v43, 0xcc, v108
	v_mad_u64_u32 v[54:55], s[10:11], s24, v43, 0
	v_add_co_u32_e32 v50, vcc, v73, v41
	v_addc_co_u32_e32 v51, vcc, v74, v42, vcc
	v_lshlrev_b64 v[41:42], 4, v[48:49]
	v_add_u32_e32 v52, 0xdd, v108
	v_add_co_u32_e32 v56, vcc, v73, v41
	v_mov_b32_e32 v41, v55
	v_mad_u64_u32 v[58:59], s[10:11], s25, v43, v[41:42]
	v_mad_u64_u32 v[59:60], s[10:11], s24, v52, 0
	v_addc_co_u32_e32 v57, vcc, v74, v42, vcc
	global_load_dwordx4 v[41:44], v[50:51], off
	global_load_dwordx4 v[45:48], v[56:57], off
	v_mov_b32_e32 v51, v60
	v_mad_u64_u32 v[51:52], s[10:11], s25, v52, v[51:52]
	v_mov_b32_e32 v55, v58
	v_lshlrev_b64 v[49:50], 4, v[54:55]
	v_mov_b32_e32 v60, v51
	v_add_co_u32_e32 v61, vcc, v73, v49
	v_add_u32_e32 v51, 0xee, v108
	v_addc_co_u32_e32 v62, vcc, v74, v50, vcc
	v_lshlrev_b64 v[49:50], 4, v[59:60]
	v_mad_u64_u32 v[58:59], s[10:11], s24, v51, 0
	v_add_u32_e32 v67, 0xff, v108
	v_mad_u64_u32 v[65:66], s[10:11], s24, v67, 0
	v_add_co_u32_e32 v63, vcc, v73, v49
	v_mov_b32_e32 v49, v59
	v_mad_u64_u32 v[59:60], s[10:11], s25, v51, v[49:50]
	v_mov_b32_e32 v60, v66
	v_addc_co_u32_e32 v64, vcc, v74, v50, vcc
	global_load_dwordx4 v[49:52], v[61:62], off
	global_load_dwordx4 v[54:57], v[63:64], off
	v_mad_u64_u32 v[60:61], s[10:11], s25, v67, v[60:61]
	v_add_u32_e32 v61, 0x110, v108
	v_mad_u64_u32 v[67:68], s[10:11], s24, v61, 0
	v_lshlrev_b64 v[58:59], 4, v[58:59]
	v_mov_b32_e32 v66, v60
	v_mov_b32_e32 v60, v68
	v_add_co_u32_e32 v69, vcc, v73, v58
	v_mad_u64_u32 v[60:61], s[10:11], s25, v61, v[60:61]
	v_addc_co_u32_e32 v70, vcc, v74, v59, vcc
	v_lshlrev_b64 v[58:59], 4, v[65:66]
	v_mov_b32_e32 v68, v60
	v_add_co_u32_e32 v71, vcc, v73, v58
	v_addc_co_u32_e32 v72, vcc, v74, v59, vcc
	global_load_dwordx4 v[58:61], v[69:70], off
	global_load_dwordx4 v[62:65], v[71:72], off
	v_lshlrev_b64 v[66:67], 4, v[67:68]
	s_movk_i32 s9, 0x1210
	v_add_co_u32_e32 v66, vcc, v73, v66
	v_addc_co_u32_e32 v67, vcc, v74, v67, vcc
	global_load_dwordx4 v[66:69], v[66:67], off
	v_mul_lo_u32 v70, v112, s9
	v_add3_u32 v70, 0, v70, v113
	s_waitcnt vmcnt(16)
	ds_write_b128 v70, v[1:4]
	s_waitcnt vmcnt(15)
	ds_write_b128 v70, v[5:8] offset:272
	s_waitcnt vmcnt(14)
	ds_write_b128 v70, v[9:12] offset:544
	;; [unrolled: 2-line block ×16, first 2 shown]
.LBB0_16:
	s_or_b64 exec, exec, s[6:7]
	s_mov_b32 s6, 0xf0f0f10
	v_mul_hi_u32 v5, v0, s6
	s_add_u32 s6, 0, 0x92481000
	s_addc_u32 s7, 0, 0x64
	s_add_i32 s7, s7, 0x249248c0
	s_mul_hi_u32 s12, s6, -7
	s_sub_i32 s12, s12, s6
	s_mul_i32 s13, s7, -7
	s_mul_i32 s9, s6, -7
	s_add_i32 s12, s12, s13
	s_mul_hi_u32 s10, s7, s9
	s_mul_i32 s11, s7, s9
	s_mul_i32 s14, s6, s12
	s_mul_hi_u32 s9, s6, s9
	s_mul_hi_u32 s13, s6, s12
	s_add_u32 s9, s9, s14
	s_addc_u32 s13, 0, s13
	s_add_u32 s9, s9, s11
	s_mul_hi_u32 s14, s7, s12
	s_addc_u32 s9, s13, s10
	s_addc_u32 s10, s14, 0
	s_mul_i32 s11, s7, s12
	v_mov_b32_e32 v1, s33
	v_add_co_u32_e32 v115, vcc, s48, v5
	s_add_u32 s9, s9, s11
	v_addc_co_u32_e32 v6, vcc, 0, v1, vcc
	v_mov_b32_e32 v1, s9
	s_addc_u32 s10, 0, s10
	v_add_co_u32_e32 v3, vcc, s6, v1
	s_cmp_lg_u64 vcc, 0
	s_addc_u32 s9, s7, s10
	v_mad_u64_u32 v[1:2], s[6:7], v115, s9, 0
	v_mul_hi_u32 v4, v115, v3
	s_load_dwordx2 s[4:5], s[4:5], 0x0
	s_waitcnt lgkmcnt(0)
	s_barrier
	v_add_co_u32_e32 v7, vcc, v4, v1
	v_addc_co_u32_e32 v8, vcc, 0, v2, vcc
	v_mad_u64_u32 v[1:2], s[6:7], v6, v3, 0
	v_mad_u64_u32 v[3:4], s[6:7], v6, s9, 0
	v_add_co_u32_e32 v1, vcc, v7, v1
	v_addc_co_u32_e32 v1, vcc, v8, v2, vcc
	v_addc_co_u32_e32 v2, vcc, 0, v4, vcc
	v_add_co_u32_e32 v1, vcc, v1, v3
	v_addc_co_u32_e32 v3, vcc, 0, v2, vcc
	v_mad_u64_u32 v[1:2], s[6:7], v1, 7, 0
	s_mov_b32 s44, 0x5d8e7cdc
	v_mad_u64_u32 v[2:3], s[6:7], v3, 7, v[2:3]
	v_sub_co_u32_e32 v1, vcc, v115, v1
	v_subb_co_u32_e32 v2, vcc, v6, v2, vcc
	v_subrev_co_u32_e32 v3, vcc, 7, v1
	v_subbrev_co_u32_e32 v4, vcc, 0, v2, vcc
	v_cmp_lt_u32_e32 vcc, 6, v3
	v_cndmask_b32_e64 v6, 0, -1, vcc
	v_cmp_eq_u32_e32 vcc, 0, v4
	v_cndmask_b32_e32 v4, -1, v6, vcc
	v_add_u32_e32 v6, -7, v3
	v_cmp_ne_u32_e32 vcc, 0, v4
	v_cndmask_b32_e32 v3, v3, v6, vcc
	v_cmp_lt_u32_e32 vcc, 6, v1
	v_cndmask_b32_e64 v4, 0, -1, vcc
	v_cmp_eq_u32_e32 vcc, 0, v2
	v_cndmask_b32_e32 v2, -1, v4, vcc
	v_cmp_ne_u32_e32 vcc, 0, v2
	v_cndmask_b32_e32 v1, v1, v3, vcc
	v_mul_u32_u24_e32 v1, 0x121, v1
	v_mul_u32_u24_e32 v2, 17, v5
	v_sub_u32_e32 v116, v0, v2
	v_lshlrev_b32_e32 v0, 4, v1
	v_add_u32_e32 v118, 0, v0
	v_lshlrev_b32_e32 v52, 4, v116
	v_add_u32_e32 v117, v118, v52
	v_add3_u32 v114, 0, v52, v0
	ds_read_b128 v[48:51], v117
	ds_read_b128 v[0:3], v114 offset:272
	ds_read_b128 v[54:57], v114 offset:544
	;; [unrolled: 1-line block ×7, first 2 shown]
	s_mov_b32 s45, 0xbfd71e95
	s_waitcnt lgkmcnt(6)
	v_add_f64 v[4:5], v[48:49], v[0:1]
	v_add_f64 v[6:7], v[50:51], v[2:3]
	s_mov_b32 s38, 0x370991
	s_mov_b32 s36, 0x2a9d6da3
	s_mov_b32 s39, 0x3fedd6d0
	s_mov_b32 s37, 0xbfe58eea
	s_mov_b32 s30, 0x75d4884
	s_mov_b32 s28, 0x7c9e640b
	s_waitcnt lgkmcnt(5)
	v_add_f64 v[4:5], v[4:5], v[54:55]
	v_add_f64 v[6:7], v[6:7], v[56:57]
	s_mov_b32 s6, 0xeb564b22
	s_mov_b32 s14, 0x923c349f
	s_mov_b32 s46, 0x6c9a05f6
	s_mov_b32 s52, 0x4363dd80
	s_mov_b32 s54, 0x910ea3b9
	;; [unrolled: 9-line block ×6, first 2 shown]
	s_mov_b32 s40, s36
	s_waitcnt lgkmcnt(0)
	v_add_f64 v[16:17], v[4:5], v[12:13]
	v_add_f64 v[18:19], v[6:7], v[14:15]
	ds_read_b128 v[4:7], v114 offset:2176
	ds_read_b128 v[8:11], v114 offset:2448
	s_mov_b32 s21, 0x3feca52d
	s_mov_b32 s20, s28
	;; [unrolled: 1-line block ×5, first 2 shown]
	s_waitcnt lgkmcnt(1)
	v_add_f64 v[16:17], v[16:17], v[4:5]
	v_add_f64 v[18:19], v[18:19], v[6:7]
	s_mov_b32 s26, s14
	s_mov_b32 s51, 0x3fe9895b
	;; [unrolled: 1-line block ×5, first 2 shown]
	s_movk_i32 s9, 0x110
	s_waitcnt lgkmcnt(0)
	v_add_f64 v[32:33], v[16:17], v[8:9]
	v_add_f64 v[34:35], v[18:19], v[10:11]
	ds_read_b128 v[16:19], v114 offset:2720
	ds_read_b128 v[24:27], v114 offset:2992
	s_waitcnt lgkmcnt(1)
	v_add_f64 v[32:33], v[32:33], v[16:17]
	v_add_f64 v[34:35], v[34:35], v[18:19]
	s_waitcnt lgkmcnt(0)
	v_add_f64 v[62:63], v[32:33], v[24:25]
	v_add_f64 v[64:65], v[34:35], v[26:27]
	ds_read_b128 v[32:35], v114 offset:3264
	ds_read_b128 v[40:43], v114 offset:3536
	;; [unrolled: 1-line block ×4, first 2 shown]
	s_waitcnt lgkmcnt(2)
	v_add_f64 v[157:158], v[38:39], v[42:43]
	v_add_f64 v[62:63], v[62:63], v[32:33]
	v_add_f64 v[64:65], v[64:65], v[34:35]
	s_waitcnt lgkmcnt(1)
	v_add_f64 v[70:71], v[2:3], v[60:61]
	v_add_f64 v[72:73], v[2:3], -v[60:61]
	v_add_f64 v[76:77], v[0:1], v[58:59]
	v_add_f64 v[78:79], v[0:1], -v[58:59]
	s_waitcnt lgkmcnt(0)
	v_add_f64 v[141:142], v[56:57], v[68:69]
	v_add_f64 v[56:57], v[56:57], -v[68:69]
	v_add_f64 v[2:3], v[62:63], v[40:41]
	v_add_f64 v[74:75], v[64:65], v[42:43]
	ds_read_b128 v[62:65], v114 offset:3808
	v_mul_f64 v[0:1], v[72:73], s[44:45]
	v_mul_f64 v[86:87], v[72:73], s[36:37]
	;; [unrolled: 1-line block ×5, first 2 shown]
	s_waitcnt lgkmcnt(0)
	v_add_f64 v[2:3], v[2:3], v[62:63]
	v_add_f64 v[74:75], v[74:75], v[64:65]
	v_mul_f64 v[125:126], v[72:73], s[46:47]
	v_fma_f64 v[82:83], v[76:77], s[38:39], v[0:1]
	v_fma_f64 v[0:1], v[76:77], s[38:39], -v[0:1]
	v_mul_f64 v[131:132], v[72:73], s[52:53]
	v_mul_f64 v[133:134], v[70:71], s[54:55]
	v_fma_f64 v[84:85], v[78:79], s[42:43], v[80:81]
	v_add_f64 v[2:3], v[2:3], v[66:67]
	v_add_f64 v[74:75], v[74:75], v[68:69]
	v_mul_f64 v[88:89], v[70:71], s[30:31]
	v_mul_f64 v[92:93], v[70:71], s[34:35]
	v_add_f64 v[90:91], v[48:49], v[0:1]
	v_fma_f64 v[100:101], v[76:77], s[10:11], v[98:99]
	v_mul_f64 v[102:103], v[70:71], s[10:11]
	v_mul_f64 v[106:107], v[70:71], s[24:25]
	v_add_f64 v[0:1], v[2:3], v[58:59]
	v_add_f64 v[2:3], v[74:75], v[60:61]
	v_fma_f64 v[58:59], v[76:77], s[30:31], v[86:87]
	v_fma_f64 v[74:75], v[76:77], s[30:31], -v[86:87]
	v_mul_f64 v[86:87], v[72:73], s[28:29]
	v_mul_f64 v[72:73], v[72:73], s[58:59]
	v_fma_f64 v[98:99], v[76:77], s[10:11], -v[98:99]
	v_fma_f64 v[121:122], v[76:77], s[24:25], v[104:105]
	v_fma_f64 v[104:105], v[76:77], s[24:25], -v[104:105]
	v_fma_f64 v[127:128], v[76:77], s[48:49], v[125:126]
	v_mul_f64 v[129:130], v[70:71], s[48:49]
	v_fma_f64 v[125:126], v[76:77], s[48:49], -v[125:126]
	v_fma_f64 v[94:95], v[76:77], s[34:35], v[86:87]
	v_fma_f64 v[86:87], v[76:77], s[34:35], -v[86:87]
	v_fma_f64 v[137:138], v[76:77], s[54:55], v[131:132]
	v_fma_f64 v[139:140], v[78:79], s[56:57], v[133:134]
	v_fma_f64 v[131:132], v[76:77], s[54:55], -v[131:132]
	v_fma_f64 v[133:134], v[78:79], s[52:53], v[133:134]
	v_mul_f64 v[68:69], v[70:71], s[60:61]
	v_fma_f64 v[70:71], v[76:77], s[60:61], v[72:73]
	v_add_f64 v[143:144], v[54:55], v[66:67]
	v_add_f64 v[54:55], v[54:55], -v[66:67]
	v_mul_f64 v[66:67], v[56:57], s[36:37]
	v_mul_f64 v[145:146], v[141:142], s[30:31]
	v_fma_f64 v[72:73], v[76:77], s[60:61], -v[72:73]
	v_fma_f64 v[80:81], v[78:79], s[44:45], v[80:81]
	v_add_f64 v[82:83], v[48:49], v[82:83]
	v_add_f64 v[84:85], v[50:51], v[84:85]
	v_fma_f64 v[60:61], v[78:79], s[40:41], v[88:89]
	v_add_f64 v[58:59], v[48:49], v[58:59]
	v_add_f64 v[74:75], v[48:49], v[74:75]
	v_fma_f64 v[88:89], v[78:79], s[36:37], v[88:89]
	v_fma_f64 v[96:97], v[78:79], s[20:21], v[92:93]
	;; [unrolled: 1-line block ×3, first 2 shown]
	v_add_f64 v[94:95], v[48:49], v[94:95]
	v_add_f64 v[86:87], v[48:49], v[86:87]
	v_fma_f64 v[119:120], v[78:79], s[12:13], v[102:103]
	v_add_f64 v[100:101], v[48:49], v[100:101]
	v_fma_f64 v[102:103], v[78:79], s[6:7], v[102:103]
	v_fma_f64 v[123:124], v[78:79], s[26:27], v[106:107]
	v_add_f64 v[98:99], v[48:49], v[98:99]
	v_add_f64 v[121:122], v[48:49], v[121:122]
	v_fma_f64 v[106:107], v[78:79], s[14:15], v[106:107]
	v_fma_f64 v[135:136], v[78:79], s[50:51], v[129:130]
	;; [unrolled: 1-line block ×3, first 2 shown]
	v_add_f64 v[104:105], v[48:49], v[104:105]
	v_add_f64 v[127:128], v[48:49], v[127:128]
	;; [unrolled: 1-line block ×4, first 2 shown]
	v_fma_f64 v[147:148], v[78:79], s[62:63], v[68:69]
	v_fma_f64 v[68:69], v[78:79], s[58:59], v[68:69]
	v_add_f64 v[76:77], v[48:49], v[131:132]
	v_add_f64 v[78:79], v[50:51], v[133:134]
	v_fma_f64 v[131:132], v[143:144], s[30:31], v[66:67]
	v_fma_f64 v[133:134], v[54:55], s[40:41], v[145:146]
	v_add_f64 v[70:71], v[48:49], v[70:71]
	v_add_f64 v[48:49], v[48:49], v[72:73]
	v_mul_f64 v[72:73], v[141:142], s[10:11]
	v_add_f64 v[80:81], v[50:51], v[80:81]
	v_add_f64 v[60:61], v[50:51], v[60:61]
	;; [unrolled: 1-line block ×14, first 2 shown]
	v_mul_f64 v[68:69], v[56:57], s[6:7]
	v_add_f64 v[82:83], v[131:132], v[82:83]
	v_add_f64 v[84:85], v[133:134], v[84:85]
	v_fma_f64 v[66:67], v[143:144], s[30:31], -v[66:67]
	v_fma_f64 v[131:132], v[54:55], s[36:37], v[145:146]
	v_mul_f64 v[133:134], v[56:57], s[46:47]
	v_mul_f64 v[145:146], v[141:142], s[48:49]
	v_fma_f64 v[151:152], v[54:55], s[12:13], v[72:73]
	v_fma_f64 v[72:73], v[54:55], s[6:7], v[72:73]
	;; [unrolled: 1-line block ×3, first 2 shown]
	v_fma_f64 v[68:69], v[143:144], s[10:11], -v[68:69]
	v_add_f64 v[66:67], v[66:67], v[90:91]
	v_add_f64 v[80:81], v[131:132], v[80:81]
	v_fma_f64 v[90:91], v[143:144], s[48:49], v[133:134]
	v_fma_f64 v[131:132], v[54:55], s[50:51], v[145:146]
	v_add_f64 v[60:61], v[151:152], v[60:61]
	v_add_f64 v[72:73], v[72:73], v[88:89]
	v_mul_f64 v[88:89], v[141:142], s[60:61]
	v_add_f64 v[68:69], v[68:69], v[74:75]
	v_mul_f64 v[74:75], v[56:57], s[58:59]
	v_add_f64 v[58:59], v[149:150], v[58:59]
	v_add_f64 v[90:91], v[90:91], v[94:95]
	;; [unrolled: 1-line block ×3, first 2 shown]
	v_fma_f64 v[96:97], v[143:144], s[48:49], -v[133:134]
	v_fma_f64 v[131:132], v[54:55], s[46:47], v[145:146]
	v_mul_f64 v[133:134], v[56:57], s[56:57]
	v_mul_f64 v[145:146], v[141:142], s[54:55]
	v_fma_f64 v[151:152], v[54:55], s[62:63], v[88:89]
	v_fma_f64 v[88:89], v[54:55], s[58:59], v[88:89]
	v_fma_f64 v[149:150], v[143:144], s[60:61], v[74:75]
	v_fma_f64 v[74:75], v[143:144], s[60:61], -v[74:75]
	v_add_f64 v[86:87], v[96:97], v[86:87]
	v_add_f64 v[92:93], v[131:132], v[92:93]
	v_fma_f64 v[96:97], v[143:144], s[54:55], v[133:134]
	v_fma_f64 v[131:132], v[54:55], s[52:53], v[145:146]
	v_add_f64 v[119:120], v[151:152], v[119:120]
	v_add_f64 v[88:89], v[88:89], v[102:103]
	v_mul_f64 v[102:103], v[141:142], s[24:25]
	v_add_f64 v[74:75], v[74:75], v[98:99]
	v_mul_f64 v[98:99], v[56:57], s[26:27]
	v_fma_f64 v[133:134], v[143:144], s[54:55], -v[133:134]
	v_add_f64 v[96:97], v[96:97], v[121:122]
	v_add_f64 v[121:122], v[131:132], v[123:124]
	v_mul_f64 v[123:124], v[56:57], s[20:21]
	v_mul_f64 v[131:132], v[141:142], s[34:35]
	v_fma_f64 v[151:152], v[54:55], s[14:15], v[102:103]
	v_add_f64 v[100:101], v[149:150], v[100:101]
	v_fma_f64 v[149:150], v[143:144], s[24:25], v[98:99]
	v_fma_f64 v[98:99], v[143:144], s[24:25], -v[98:99]
	v_fma_f64 v[102:103], v[54:55], s[26:27], v[102:103]
	v_add_f64 v[104:105], v[133:134], v[104:105]
	v_fma_f64 v[153:154], v[143:144], s[34:35], v[123:124]
	v_fma_f64 v[155:156], v[54:55], s[28:29], v[131:132]
	v_add_f64 v[133:134], v[151:152], v[135:136]
	v_add_f64 v[135:136], v[46:47], -v[64:65]
	v_add_f64 v[46:47], v[46:47], v[64:65]
	v_mul_f64 v[56:57], v[56:57], s[42:43]
	v_fma_f64 v[145:146], v[54:55], s[56:57], v[145:146]
	v_add_f64 v[98:99], v[98:99], v[125:126]
	v_add_f64 v[102:103], v[102:103], v[129:130]
	;; [unrolled: 1-line block ×4, first 2 shown]
	v_mul_f64 v[64:65], v[141:142], s[38:39]
	v_fma_f64 v[123:124], v[143:144], s[34:35], -v[123:124]
	v_fma_f64 v[131:132], v[54:55], s[20:21], v[131:132]
	v_add_f64 v[137:138], v[44:45], v[62:63]
	v_add_f64 v[44:45], v[44:45], -v[62:63]
	v_mul_f64 v[62:63], v[135:136], s[28:29]
	v_mul_f64 v[139:140], v[46:47], s[34:35]
	v_fma_f64 v[141:142], v[143:144], s[38:39], v[56:57]
	v_fma_f64 v[56:57], v[143:144], s[38:39], -v[56:57]
	v_add_f64 v[106:107], v[145:146], v[106:107]
	v_fma_f64 v[145:146], v[54:55], s[44:45], v[64:65]
	v_fma_f64 v[54:55], v[54:55], s[42:43], v[64:65]
	v_add_f64 v[64:65], v[123:124], v[76:77]
	v_add_f64 v[76:77], v[131:132], v[78:79]
	v_fma_f64 v[78:79], v[137:138], s[34:35], v[62:63]
	v_fma_f64 v[123:124], v[44:45], s[20:21], v[139:140]
	v_add_f64 v[48:49], v[56:57], v[48:49]
	v_mul_f64 v[56:57], v[46:47], s[48:49]
	v_fma_f64 v[62:63], v[137:138], s[34:35], -v[62:63]
	v_add_f64 v[50:51], v[54:55], v[50:51]
	v_mul_f64 v[54:55], v[135:136], s[46:47]
	v_add_f64 v[70:71], v[141:142], v[70:71]
	v_add_f64 v[78:79], v[78:79], v[82:83]
	;; [unrolled: 1-line block ×3, first 2 shown]
	v_fma_f64 v[84:85], v[44:45], s[28:29], v[139:140]
	v_mul_f64 v[139:140], v[46:47], s[60:61]
	v_fma_f64 v[143:144], v[44:45], s[50:51], v[56:57]
	v_fma_f64 v[56:57], v[44:45], s[46:47], v[56:57]
	v_mul_f64 v[123:124], v[135:136], s[62:63]
	v_fma_f64 v[141:142], v[137:138], s[48:49], v[54:55]
	v_fma_f64 v[54:55], v[137:138], s[48:49], -v[54:55]
	v_add_f64 v[62:63], v[62:63], v[66:67]
	v_add_f64 v[66:67], v[84:85], v[80:81]
	v_fma_f64 v[84:85], v[44:45], s[58:59], v[139:140]
	v_add_f64 v[60:61], v[143:144], v[60:61]
	v_add_f64 v[56:57], v[56:57], v[72:73]
	v_mul_f64 v[72:73], v[46:47], s[24:25]
	v_fma_f64 v[80:81], v[137:138], s[60:61], v[123:124]
	v_add_f64 v[58:59], v[141:142], v[58:59]
	v_add_f64 v[54:55], v[54:55], v[68:69]
	v_mul_f64 v[68:69], v[135:136], s[26:27]
	v_add_f64 v[141:142], v[84:85], v[94:95]
	v_fma_f64 v[84:85], v[137:138], s[60:61], -v[123:124]
	v_mul_f64 v[94:95], v[135:136], s[40:41]
	v_mul_f64 v[123:124], v[46:47], s[30:31]
	v_fma_f64 v[143:144], v[44:45], s[14:15], v[72:73]
	v_fma_f64 v[72:73], v[44:45], s[26:27], v[72:73]
	v_add_f64 v[131:132], v[145:146], v[147:148]
	v_add_f64 v[80:81], v[80:81], v[90:91]
	v_fma_f64 v[90:91], v[44:45], s[62:63], v[139:140]
	v_fma_f64 v[139:140], v[137:138], s[24:25], v[68:69]
	v_fma_f64 v[68:69], v[137:138], s[24:25], -v[68:69]
	v_add_f64 v[145:146], v[84:85], v[86:87]
	v_fma_f64 v[84:85], v[137:138], s[30:31], v[94:95]
	v_fma_f64 v[86:87], v[44:45], s[36:37], v[123:124]
	v_add_f64 v[119:120], v[143:144], v[119:120]
	v_add_f64 v[143:144], v[72:73], v[88:89]
	v_mul_f64 v[72:73], v[135:136], s[44:45]
	v_add_f64 v[127:128], v[149:150], v[127:128]
	v_add_f64 v[147:148], v[90:91], v[92:93]
	;; [unrolled: 1-line block ×3, first 2 shown]
	v_mul_f64 v[74:75], v[46:47], s[38:39]
	v_add_f64 v[149:150], v[84:85], v[96:97]
	v_add_f64 v[121:122], v[86:87], v[121:122]
	v_mul_f64 v[84:85], v[135:136], s[6:7]
	v_mul_f64 v[86:87], v[46:47], s[10:11]
	v_fma_f64 v[88:89], v[137:138], s[30:31], -v[94:95]
	v_fma_f64 v[92:93], v[137:138], s[38:39], v[72:73]
	v_fma_f64 v[72:73], v[137:138], s[38:39], -v[72:73]
	v_add_f64 v[155:156], v[38:39], -v[42:43]
	v_mul_f64 v[42:43], v[46:47], s[54:55]
	v_add_f64 v[139:140], v[139:140], v[100:101]
	v_fma_f64 v[90:91], v[44:45], s[40:41], v[123:124]
	v_fma_f64 v[94:95], v[44:45], s[42:43], v[74:75]
	;; [unrolled: 1-line block ×5, first 2 shown]
	v_add_f64 v[123:124], v[88:89], v[104:105]
	v_add_f64 v[153:154], v[72:73], v[98:99]
	v_mul_f64 v[38:39], v[135:136], s[52:53]
	v_fma_f64 v[46:47], v[137:138], s[10:11], -v[84:85]
	v_fma_f64 v[72:73], v[44:45], s[6:7], v[86:87]
	v_add_f64 v[86:87], v[36:37], v[40:41]
	v_add_f64 v[88:89], v[36:37], -v[40:41]
	v_mul_f64 v[36:37], v[155:156], s[6:7]
	v_mul_f64 v[40:41], v[157:158], s[10:11]
	v_fma_f64 v[84:85], v[44:45], s[56:57], v[42:43]
	v_fma_f64 v[42:43], v[44:45], s[52:53], v[42:43]
	v_add_f64 v[151:152], v[90:91], v[106:107]
	v_add_f64 v[102:103], v[74:75], v[102:103]
	v_fma_f64 v[74:75], v[137:138], s[54:55], v[38:39]
	v_fma_f64 v[38:39], v[137:138], s[54:55], -v[38:39]
	v_add_f64 v[98:99], v[46:47], v[64:65]
	v_fma_f64 v[44:45], v[86:87], s[10:11], v[36:37]
	v_fma_f64 v[46:47], v[88:89], s[12:13], v[40:41]
	v_add_f64 v[106:107], v[42:43], v[50:51]
	v_mul_f64 v[42:43], v[157:158], s[60:61]
	v_add_f64 v[133:134], v[94:95], v[133:134]
	v_add_f64 v[125:126], v[96:97], v[125:126]
	;; [unrolled: 1-line block ×3, first 2 shown]
	v_mul_f64 v[38:39], v[155:156], s[58:59]
	v_add_f64 v[94:95], v[44:45], v[78:79]
	v_add_f64 v[96:97], v[46:47], v[82:83]
	v_fma_f64 v[36:37], v[86:87], s[10:11], -v[36:37]
	v_fma_f64 v[40:41], v[88:89], s[6:7], v[40:41]
	v_mul_f64 v[44:45], v[155:156], s[26:27]
	v_mul_f64 v[46:47], v[157:158], s[24:25]
	v_fma_f64 v[50:51], v[88:89], s[62:63], v[42:43]
	v_fma_f64 v[42:43], v[88:89], s[58:59], v[42:43]
	v_add_f64 v[127:128], v[92:93], v[127:128]
	v_add_f64 v[129:130], v[100:101], v[129:130]
	;; [unrolled: 1-line block ×4, first 2 shown]
	v_fma_f64 v[48:49], v[86:87], s[60:61], v[38:39]
	v_fma_f64 v[38:39], v[86:87], s[60:61], -v[38:39]
	v_add_f64 v[82:83], v[36:37], v[62:63]
	v_add_f64 v[84:85], v[40:41], v[66:67]
	v_fma_f64 v[36:37], v[86:87], s[24:25], v[44:45]
	v_fma_f64 v[40:41], v[88:89], s[14:15], v[46:47]
	v_add_f64 v[76:77], v[42:43], v[56:57]
	v_mul_f64 v[42:43], v[157:158], s[38:39]
	v_add_f64 v[90:91], v[74:75], v[70:71]
	v_add_f64 v[72:73], v[50:51], v[60:61]
	;; [unrolled: 1-line block ×3, first 2 shown]
	v_mul_f64 v[38:39], v[155:156], s[42:43]
	v_add_f64 v[78:79], v[36:37], v[80:81]
	v_add_f64 v[80:81], v[40:41], v[141:142]
	v_fma_f64 v[36:37], v[86:87], s[24:25], -v[44:45]
	v_fma_f64 v[40:41], v[88:89], s[26:27], v[46:47]
	v_mul_f64 v[46:47], v[155:156], s[28:29]
	v_fma_f64 v[50:51], v[88:89], s[44:45], v[42:43]
	v_add_f64 v[70:71], v[48:49], v[58:59]
	v_mul_f64 v[48:49], v[157:158], s[34:35]
	v_fma_f64 v[44:45], v[86:87], s[38:39], v[38:39]
	v_fma_f64 v[54:55], v[86:87], s[38:39], -v[38:39]
	v_fma_f64 v[56:57], v[88:89], s[42:43], v[42:43]
	v_add_f64 v[62:63], v[36:37], v[145:146]
	v_add_f64 v[64:65], v[40:41], v[147:148]
	v_fma_f64 v[36:37], v[86:87], s[34:35], v[46:47]
	v_add_f64 v[40:41], v[50:51], v[119:120]
	v_mul_f64 v[50:51], v[155:156], s[52:53]
	v_mul_f64 v[119:120], v[155:156], s[50:51]
	v_fma_f64 v[58:59], v[88:89], s[20:21], v[48:49]
	v_add_f64 v[38:39], v[44:45], v[139:140]
	v_add_f64 v[42:43], v[54:55], v[68:69]
	;; [unrolled: 1-line block ×3, first 2 shown]
	v_mul_f64 v[54:55], v[157:158], s[54:55]
	v_add_f64 v[66:67], v[36:37], v[149:150]
	v_fma_f64 v[36:37], v[86:87], s[34:35], -v[46:47]
	v_fma_f64 v[56:57], v[86:87], s[54:55], v[50:51]
	v_fma_f64 v[60:61], v[86:87], s[54:55], -v[50:51]
	v_fma_f64 v[135:136], v[86:87], s[48:49], v[119:120]
	v_add_f64 v[68:69], v[58:59], v[121:122]
	v_mul_f64 v[121:122], v[157:158], s[48:49]
	v_fma_f64 v[58:59], v[88:89], s[56:57], v[54:55]
	v_fma_f64 v[131:132], v[88:89], s[52:53], v[54:55]
	v_add_f64 v[46:47], v[36:37], v[123:124]
	v_add_f64 v[50:51], v[56:57], v[127:128]
	;; [unrolled: 1-line block ×4, first 2 shown]
	v_add_f64 v[36:37], v[30:31], -v[34:35]
	v_add_f64 v[34:35], v[30:31], v[34:35]
	v_mul_f64 v[125:126], v[157:158], s[30:31]
	v_fma_f64 v[137:138], v[88:89], s[46:47], v[121:122]
	v_add_f64 v[54:55], v[58:59], v[133:134]
	v_add_f64 v[58:59], v[131:132], v[102:103]
	v_mul_f64 v[123:124], v[155:156], s[40:41]
	v_fma_f64 v[119:120], v[86:87], s[48:49], -v[119:120]
	v_fma_f64 v[121:122], v[88:89], s[50:51], v[121:122]
	v_add_f64 v[30:31], v[28:29], v[32:33]
	v_add_f64 v[28:29], v[28:29], -v[32:33]
	v_mul_f64 v[32:33], v[36:37], s[14:15]
	v_mul_f64 v[127:128], v[34:35], s[24:25]
	v_fma_f64 v[131:132], v[88:89], s[36:37], v[125:126]
	v_fma_f64 v[125:126], v[88:89], s[40:41], v[125:126]
	;; [unrolled: 1-line block ×3, first 2 shown]
	v_add_f64 v[102:103], v[137:138], v[129:130]
	v_fma_f64 v[129:130], v[86:87], s[30:31], v[123:124]
	v_fma_f64 v[123:124], v[86:87], s[30:31], -v[123:124]
	v_add_f64 v[98:99], v[119:120], v[98:99]
	v_add_f64 v[100:101], v[121:122], v[100:101]
	v_fma_f64 v[119:120], v[30:31], s[24:25], v[32:33]
	v_fma_f64 v[121:122], v[28:29], s[26:27], v[127:128]
	v_add_f64 v[88:89], v[131:132], v[92:93]
	v_add_f64 v[92:93], v[125:126], v[106:107]
	v_mul_f64 v[106:107], v[34:35], s[54:55]
	v_add_f64 v[86:87], v[129:130], v[90:91]
	v_add_f64 v[90:91], v[123:124], v[104:105]
	v_mul_f64 v[104:105], v[36:37], s[56:57]
	v_add_f64 v[94:95], v[119:120], v[94:95]
	v_add_f64 v[96:97], v[121:122], v[96:97]
	v_fma_f64 v[32:33], v[30:31], s[24:25], -v[32:33]
	v_fma_f64 v[119:120], v[28:29], s[14:15], v[127:128]
	v_mul_f64 v[121:122], v[36:37], s[40:41]
	v_fma_f64 v[127:128], v[28:29], s[52:53], v[106:107]
	v_fma_f64 v[106:107], v[28:29], s[56:57], v[106:107]
	v_mul_f64 v[123:124], v[34:35], s[30:31]
	v_fma_f64 v[125:126], v[30:31], s[54:55], v[104:105]
	v_fma_f64 v[104:105], v[30:31], s[54:55], -v[104:105]
	v_add_f64 v[82:83], v[32:33], v[82:83]
	v_add_f64 v[84:85], v[119:120], v[84:85]
	v_fma_f64 v[32:33], v[30:31], s[30:31], v[121:122]
	v_add_f64 v[72:73], v[127:128], v[72:73]
	v_add_f64 v[76:77], v[106:107], v[76:77]
	v_mul_f64 v[106:107], v[34:35], s[34:35]
	v_fma_f64 v[119:120], v[28:29], s[36:37], v[123:124]
	v_add_f64 v[74:75], v[104:105], v[74:75]
	v_mul_f64 v[104:105], v[36:37], s[28:29]
	v_add_f64 v[70:71], v[125:126], v[70:71]
	v_add_f64 v[78:79], v[32:33], v[78:79]
	v_fma_f64 v[32:33], v[30:31], s[30:31], -v[121:122]
	v_mul_f64 v[121:122], v[36:37], s[58:59]
	v_fma_f64 v[127:128], v[28:29], s[20:21], v[106:107]
	v_fma_f64 v[106:107], v[28:29], s[28:29], v[106:107]
	v_add_f64 v[80:81], v[119:120], v[80:81]
	v_fma_f64 v[119:120], v[28:29], s[40:41], v[123:124]
	v_mul_f64 v[123:124], v[34:35], s[60:61]
	v_fma_f64 v[125:126], v[30:31], s[34:35], v[104:105]
	v_add_f64 v[62:63], v[32:33], v[62:63]
	v_fma_f64 v[32:33], v[30:31], s[60:61], v[121:122]
	v_fma_f64 v[104:105], v[30:31], s[34:35], -v[104:105]
	v_add_f64 v[44:45], v[106:107], v[44:45]
	v_mul_f64 v[106:107], v[34:35], s[38:39]
	v_add_f64 v[64:65], v[119:120], v[64:65]
	v_fma_f64 v[119:120], v[28:29], s[62:63], v[123:124]
	v_add_f64 v[38:39], v[125:126], v[38:39]
	v_add_f64 v[40:41], v[127:128], v[40:41]
	v_mul_f64 v[125:126], v[36:37], s[12:13]
	v_mul_f64 v[127:128], v[34:35], s[10:11]
	v_add_f64 v[66:67], v[32:33], v[66:67]
	v_fma_f64 v[32:33], v[30:31], s[60:61], -v[121:122]
	v_fma_f64 v[131:132], v[28:29], s[42:43], v[106:107]
	v_add_f64 v[48:49], v[48:49], v[151:152]
	v_add_f64 v[42:43], v[104:105], v[42:43]
	;; [unrolled: 1-line block ×3, first 2 shown]
	v_mul_f64 v[104:105], v[36:37], s[44:45]
	v_fma_f64 v[119:120], v[28:29], s[58:59], v[123:124]
	v_fma_f64 v[121:122], v[30:31], s[10:11], v[125:126]
	;; [unrolled: 1-line block ×3, first 2 shown]
	v_add_f64 v[46:47], v[32:33], v[46:47]
	v_add_f64 v[32:33], v[131:132], v[102:103]
	v_add_f64 v[102:103], v[22:23], -v[26:27]
	v_add_f64 v[22:23], v[22:23], v[26:27]
	v_mul_f64 v[26:27], v[36:37], s[46:47]
	v_mul_f64 v[34:35], v[34:35], s[48:49]
	v_fma_f64 v[129:130], v[30:31], s[38:39], v[104:105]
	v_add_f64 v[48:49], v[119:120], v[48:49]
	v_add_f64 v[50:51], v[121:122], v[50:51]
	;; [unrolled: 1-line block ×3, first 2 shown]
	v_fma_f64 v[36:37], v[30:31], s[38:39], -v[104:105]
	v_fma_f64 v[104:105], v[28:29], s[44:45], v[106:107]
	v_add_f64 v[106:107], v[20:21], v[24:25]
	v_add_f64 v[20:21], v[20:21], -v[24:25]
	v_mul_f64 v[24:25], v[102:103], s[46:47]
	v_mul_f64 v[119:120], v[22:23], s[48:49]
	v_fma_f64 v[121:122], v[30:31], s[48:49], v[26:27]
	v_fma_f64 v[123:124], v[28:29], s[50:51], v[34:35]
	v_fma_f64 v[26:27], v[30:31], s[48:49], -v[26:27]
	v_fma_f64 v[125:126], v[30:31], s[10:11], -v[125:126]
	v_fma_f64 v[127:128], v[28:29], s[12:13], v[127:128]
	v_fma_f64 v[28:29], v[28:29], s[46:47], v[34:35]
	v_add_f64 v[30:31], v[36:37], v[98:99]
	v_add_f64 v[34:35], v[104:105], v[100:101]
	v_fma_f64 v[36:37], v[106:107], s[48:49], v[24:25]
	v_fma_f64 v[98:99], v[20:21], s[50:51], v[119:120]
	v_add_f64 v[100:101], v[123:124], v[88:89]
	v_add_f64 v[26:27], v[26:27], v[90:91]
	v_mul_f64 v[88:89], v[102:103], s[26:27]
	v_mul_f64 v[90:91], v[22:23], s[24:25]
	v_add_f64 v[28:29], v[28:29], v[92:93]
	v_fma_f64 v[24:25], v[106:107], s[48:49], -v[24:25]
	v_add_f64 v[36:37], v[36:37], v[94:95]
	v_add_f64 v[92:93], v[98:99], v[96:97]
	v_fma_f64 v[94:95], v[20:21], s[46:47], v[119:120]
	v_mul_f64 v[96:97], v[102:103], s[44:45]
	v_mul_f64 v[98:99], v[22:23], s[38:39]
	v_fma_f64 v[104:105], v[106:107], s[24:25], v[88:89]
	v_fma_f64 v[119:120], v[20:21], s[14:15], v[90:91]
	v_fma_f64 v[88:89], v[106:107], s[24:25], -v[88:89]
	v_fma_f64 v[90:91], v[20:21], s[26:27], v[90:91]
	v_add_f64 v[24:25], v[24:25], v[82:83]
	v_add_f64 v[94:95], v[94:95], v[84:85]
	v_fma_f64 v[82:83], v[106:107], s[38:39], v[96:97]
	v_fma_f64 v[84:85], v[20:21], s[42:43], v[98:99]
	v_add_f64 v[70:71], v[104:105], v[70:71]
	v_add_f64 v[86:87], v[121:122], v[86:87]
	;; [unrolled: 1-line block ×4, first 2 shown]
	v_mul_f64 v[74:75], v[102:103], s[52:53]
	v_mul_f64 v[76:77], v[22:23], s[54:55]
	v_add_f64 v[72:73], v[119:120], v[72:73]
	v_add_f64 v[119:120], v[82:83], v[78:79]
	;; [unrolled: 1-line block ×3, first 2 shown]
	v_fma_f64 v[78:79], v[106:107], s[38:39], -v[96:97]
	v_fma_f64 v[80:81], v[20:21], s[44:45], v[98:99]
	v_mul_f64 v[82:83], v[102:103], s[12:13]
	v_mul_f64 v[84:85], v[22:23], s[10:11]
	v_fma_f64 v[88:89], v[106:107], s[54:55], v[74:75]
	v_fma_f64 v[96:97], v[20:21], s[56:57], v[76:77]
	v_fma_f64 v[74:75], v[106:107], s[54:55], -v[74:75]
	v_fma_f64 v[76:77], v[20:21], s[52:53], v[76:77]
	v_add_f64 v[62:63], v[78:79], v[62:63]
	v_add_f64 v[64:65], v[80:81], v[64:65]
	v_fma_f64 v[78:79], v[106:107], s[10:11], v[82:83]
	v_fma_f64 v[80:81], v[20:21], s[6:7], v[84:85]
	v_add_f64 v[58:59], v[127:128], v[58:59]
	v_add_f64 v[38:39], v[88:89], v[38:39]
	;; [unrolled: 1-line block ×4, first 2 shown]
	v_mul_f64 v[74:75], v[102:103], s[36:37]
	v_mul_f64 v[76:77], v[22:23], s[30:31]
	v_add_f64 v[40:41], v[96:97], v[40:41]
	v_add_f64 v[66:67], v[78:79], v[66:67]
	v_add_f64 v[68:69], v[80:81], v[68:69]
	v_mul_f64 v[78:79], v[102:103], s[58:59]
	v_mul_f64 v[80:81], v[22:23], s[60:61]
	v_fma_f64 v[82:83], v[106:107], s[10:11], -v[82:83]
	v_fma_f64 v[84:85], v[20:21], s[12:13], v[84:85]
	v_fma_f64 v[88:89], v[106:107], s[30:31], v[74:75]
	;; [unrolled: 1-line block ×4, first 2 shown]
	v_add_f64 v[135:136], v[14:15], -v[18:19]
	v_add_f64 v[137:138], v[14:15], v[18:19]
	v_mul_f64 v[14:15], v[102:103], s[20:21]
	v_mul_f64 v[18:19], v[22:23], s[34:35]
	v_add_f64 v[56:57], v[125:126], v[56:57]
	v_add_f64 v[60:61], v[129:130], v[60:61]
	v_fma_f64 v[74:75], v[106:107], s[30:31], -v[74:75]
	v_fma_f64 v[123:124], v[20:21], s[62:63], v[80:81]
	v_add_f64 v[125:126], v[82:83], v[46:47]
	v_add_f64 v[127:128], v[84:85], v[48:49]
	v_add_f64 v[129:130], v[88:89], v[50:51]
	v_add_f64 v[133:134], v[76:77], v[58:59]
	v_fma_f64 v[22:23], v[106:107], s[60:61], -v[78:79]
	v_add_f64 v[76:77], v[12:13], v[16:17]
	v_add_f64 v[88:89], v[12:13], -v[16:17]
	v_mul_f64 v[12:13], v[135:136], s[52:53]
	v_mul_f64 v[16:17], v[137:138], s[54:55]
	v_fma_f64 v[46:47], v[106:107], s[34:35], v[14:15]
	v_fma_f64 v[48:49], v[20:21], s[28:29], v[18:19]
	v_fma_f64 v[14:15], v[106:107], s[34:35], -v[14:15]
	v_fma_f64 v[18:19], v[20:21], s[20:21], v[18:19]
	v_fma_f64 v[98:99], v[106:107], s[60:61], v[78:79]
	v_add_f64 v[131:132], v[74:75], v[56:57]
	v_add_f64 v[123:124], v[123:124], v[32:33]
	v_fma_f64 v[32:33], v[20:21], s[58:59], v[80:81]
	v_add_f64 v[102:103], v[22:23], v[30:31]
	v_fma_f64 v[20:21], v[76:77], s[54:55], v[12:13]
	v_fma_f64 v[22:23], v[88:89], s[56:57], v[16:17]
	v_add_f64 v[74:75], v[14:15], v[26:27]
	v_add_f64 v[78:79], v[18:19], v[28:29]
	v_mul_f64 v[14:15], v[135:136], s[20:21]
	v_mul_f64 v[18:19], v[137:138], s[34:35]
	v_fma_f64 v[12:13], v[76:77], s[54:55], -v[12:13]
	v_add_f64 v[106:107], v[32:33], v[34:35]
	v_add_f64 v[80:81], v[20:21], v[36:37]
	;; [unrolled: 1-line block ×3, first 2 shown]
	v_mul_f64 v[20:21], v[135:136], s[6:7]
	v_mul_f64 v[22:23], v[137:138], s[10:11]
	v_fma_f64 v[26:27], v[76:77], s[34:35], v[14:15]
	v_fma_f64 v[28:29], v[88:89], s[28:29], v[18:19]
	;; [unrolled: 1-line block ×3, first 2 shown]
	v_fma_f64 v[30:31], v[76:77], s[34:35], -v[14:15]
	v_add_f64 v[84:85], v[12:13], v[24:25]
	v_add_f64 v[139:140], v[46:47], v[86:87]
	v_fma_f64 v[24:25], v[76:77], s[10:11], v[20:21]
	v_fma_f64 v[32:33], v[88:89], s[12:13], v[22:23]
	v_add_f64 v[12:13], v[26:27], v[70:71]
	v_add_f64 v[14:15], v[28:29], v[72:73]
	v_mul_f64 v[26:27], v[135:136], s[50:51]
	v_mul_f64 v[28:29], v[137:138], s[48:49]
	v_add_f64 v[86:87], v[16:17], v[94:95]
	v_add_f64 v[16:17], v[30:31], v[104:105]
	;; [unrolled: 1-line block ×4, first 2 shown]
	v_fma_f64 v[20:21], v[76:77], s[10:11], -v[20:21]
	v_fma_f64 v[22:23], v[88:89], s[6:7], v[22:23]
	v_mul_f64 v[24:25], v[135:136], s[44:45]
	v_mul_f64 v[30:31], v[137:138], s[38:39]
	v_fma_f64 v[32:33], v[76:77], s[48:49], v[26:27]
	v_fma_f64 v[34:35], v[88:89], s[46:47], v[28:29]
	v_fma_f64 v[26:27], v[76:77], s[48:49], -v[26:27]
	v_fma_f64 v[28:29], v[88:89], s[50:51], v[28:29]
	v_add_f64 v[96:97], v[96:97], v[54:55]
	v_add_f64 v[98:99], v[98:99], v[60:61]
	;; [unrolled: 1-line block ×4, first 2 shown]
	v_fma_f64 v[20:21], v[76:77], s[38:39], v[24:25]
	v_fma_f64 v[22:23], v[88:89], s[42:43], v[30:31]
	v_add_f64 v[58:59], v[32:33], v[38:39]
	v_add_f64 v[60:61], v[34:35], v[40:41]
	;; [unrolled: 1-line block ×4, first 2 shown]
	v_mul_f64 v[26:27], v[135:136], s[58:59]
	v_mul_f64 v[28:29], v[137:138], s[60:61]
	v_fma_f64 v[18:19], v[88:89], s[20:21], v[18:19]
	v_add_f64 v[44:45], v[20:21], v[66:67]
	v_add_f64 v[46:47], v[22:23], v[68:69]
	v_fma_f64 v[20:21], v[76:77], s[38:39], -v[24:25]
	v_fma_f64 v[22:23], v[88:89], s[44:45], v[30:31]
	v_mul_f64 v[30:31], v[135:136], s[40:41]
	v_mul_f64 v[62:63], v[137:138], s[30:31]
	v_fma_f64 v[24:25], v[76:77], s[60:61], v[26:27]
	v_fma_f64 v[34:35], v[88:89], s[62:63], v[28:29]
	v_fma_f64 v[26:27], v[76:77], s[60:61], -v[26:27]
	v_fma_f64 v[28:29], v[88:89], s[58:59], v[28:29]
	v_add_f64 v[42:43], v[6:7], -v[10:11]
	v_add_f64 v[36:37], v[6:7], v[10:11]
	v_add_f64 v[100:101], v[48:49], v[100:101]
	;; [unrolled: 1-line block ×4, first 2 shown]
	v_fma_f64 v[20:21], v[76:77], s[30:31], v[30:31]
	v_add_f64 v[32:33], v[24:25], v[129:130]
	v_add_f64 v[24:25], v[26:27], v[131:132]
	;; [unrolled: 1-line block ×3, first 2 shown]
	v_mul_f64 v[90:91], v[135:136], s[14:15]
	v_mul_f64 v[92:93], v[137:138], s[24:25]
	v_fma_f64 v[6:7], v[76:77], s[30:31], -v[30:31]
	v_fma_f64 v[10:11], v[88:89], s[40:41], v[62:63]
	v_add_f64 v[30:31], v[4:5], v[8:9]
	v_add_f64 v[28:29], v[4:5], -v[8:9]
	v_mul_f64 v[4:5], v[42:43], s[58:59]
	v_mul_f64 v[8:9], v[36:37], s[60:61]
	v_add_f64 v[50:51], v[22:23], v[127:128]
	v_fma_f64 v[22:23], v[88:89], s[36:37], v[62:63]
	v_fma_f64 v[66:67], v[76:77], s[24:25], v[90:91]
	;; [unrolled: 1-line block ×3, first 2 shown]
	v_add_f64 v[62:63], v[6:7], v[102:103]
	v_add_f64 v[64:65], v[10:11], v[106:107]
	v_fma_f64 v[6:7], v[76:77], s[24:25], -v[90:91]
	v_fma_f64 v[10:11], v[88:89], s[14:15], v[92:93]
	v_fma_f64 v[88:89], v[30:31], s[60:61], v[4:5]
	;; [unrolled: 1-line block ×3, first 2 shown]
	v_mul_f64 v[92:93], v[42:43], s[42:43]
	v_mul_f64 v[94:95], v[36:37], s[38:39]
	v_fma_f64 v[4:5], v[30:31], s[60:61], -v[4:5]
	v_add_f64 v[34:35], v[34:35], v[96:97]
	v_fma_f64 v[96:97], v[28:29], s[58:59], v[8:9]
	v_add_f64 v[76:77], v[6:7], v[74:75]
	v_add_f64 v[74:75], v[10:11], v[78:79]
	;; [unrolled: 1-line block ×4, first 2 shown]
	v_fma_f64 v[78:79], v[30:31], s[38:39], v[92:93]
	v_fma_f64 v[80:81], v[28:29], s[44:45], v[94:95]
	v_add_f64 v[4:5], v[4:5], v[84:85]
	v_mul_f64 v[82:83], v[42:43], s[52:53]
	v_mul_f64 v[84:85], v[36:37], s[54:55]
	v_add_f64 v[6:7], v[96:97], v[86:87]
	v_fma_f64 v[86:87], v[30:31], s[38:39], -v[92:93]
	v_fma_f64 v[88:89], v[28:29], s[42:43], v[94:95]
	v_add_f64 v[12:13], v[78:79], v[12:13]
	v_add_f64 v[14:15], v[80:81], v[14:15]
	v_mul_f64 v[78:79], v[42:43], s[40:41]
	v_mul_f64 v[80:81], v[36:37], s[30:31]
	v_fma_f64 v[90:91], v[30:31], s[54:55], v[82:83]
	v_fma_f64 v[92:93], v[28:29], s[56:57], v[84:85]
	v_add_f64 v[16:17], v[86:87], v[16:17]
	v_add_f64 v[18:19], v[88:89], v[18:19]
	v_fma_f64 v[82:83], v[30:31], s[54:55], -v[82:83]
	v_fma_f64 v[84:85], v[28:29], s[52:53], v[84:85]
	v_fma_f64 v[86:87], v[30:31], s[30:31], v[78:79]
	;; [unrolled: 1-line block ×3, first 2 shown]
	v_add_f64 v[70:71], v[90:91], v[70:71]
	v_add_f64 v[72:73], v[92:93], v[72:73]
	v_mul_f64 v[90:91], v[42:43], s[46:47]
	v_mul_f64 v[92:93], v[36:37], s[48:49]
	v_add_f64 v[54:55], v[82:83], v[54:55]
	v_add_f64 v[56:57], v[84:85], v[56:57]
	;; [unrolled: 1-line block ×4, first 2 shown]
	v_fma_f64 v[78:79], v[30:31], s[30:31], -v[78:79]
	v_fma_f64 v[80:81], v[28:29], s[40:41], v[80:81]
	v_fma_f64 v[82:83], v[30:31], s[48:49], v[90:91]
	;; [unrolled: 1-line block ×3, first 2 shown]
	v_mul_f64 v[86:87], v[42:43], s[20:21]
	v_mul_f64 v[88:89], v[36:37], s[34:35]
	v_add_f64 v[20:21], v[20:21], v[98:99]
	v_add_f64 v[22:23], v[22:23], v[123:124]
	;; [unrolled: 1-line block ×6, first 2 shown]
	v_fma_f64 v[78:79], v[30:31], s[34:35], v[86:87]
	v_fma_f64 v[80:81], v[28:29], s[28:29], v[88:89]
	v_fma_f64 v[82:83], v[30:31], s[34:35], -v[86:87]
	v_fma_f64 v[84:85], v[28:29], s[20:21], v[88:89]
	v_mul_f64 v[86:87], v[42:43], s[14:15]
	v_mul_f64 v[88:89], v[36:37], s[24:25]
	;; [unrolled: 1-line block ×4, first 2 shown]
	v_add_f64 v[68:69], v[68:69], v[100:101]
	v_add_f64 v[32:33], v[78:79], v[32:33]
	;; [unrolled: 1-line block ×4, first 2 shown]
	v_fma_f64 v[78:79], v[30:31], s[24:25], v[86:87]
	v_fma_f64 v[80:81], v[28:29], s[26:27], v[88:89]
	;; [unrolled: 1-line block ×5, first 2 shown]
	v_add_f64 v[66:67], v[66:67], v[139:140]
	v_fma_f64 v[90:91], v[30:31], s[48:49], -v[90:91]
	v_fma_f64 v[92:93], v[28:29], s[46:47], v[92:93]
	v_add_f64 v[24:25], v[82:83], v[24:25]
	v_fma_f64 v[82:83], v[30:31], s[24:25], -v[86:87]
	v_fma_f64 v[86:87], v[30:31], s[10:11], v[42:43]
	v_fma_f64 v[42:43], v[30:31], s[10:11], -v[42:43]
	v_add_f64 v[20:21], v[78:79], v[20:21]
	v_add_f64 v[22:23], v[80:81], v[22:23]
	;; [unrolled: 1-line block ×5, first 2 shown]
	v_mad_i32_i24 v36, v116, s9, v118
	v_add_f64 v[48:49], v[90:91], v[48:49]
	v_add_f64 v[50:51], v[92:93], v[50:51]
	;; [unrolled: 1-line block ×5, first 2 shown]
	s_barrier
	ds_write_b128 v36, v[0:3]
	ds_write_b128 v36, v[8:11] offset:16
	ds_write_b128 v36, v[12:15] offset:32
	;; [unrolled: 1-line block ×16, first 2 shown]
	v_lshlrev_b64 v[0:1], 4, v[52:53]
	v_mov_b32_e32 v2, s65
	v_add_co_u32_e32 v24, vcc, s64, v0
	v_addc_co_u32_e32 v25, vcc, v2, v1, vcc
	s_waitcnt lgkmcnt(0)
	s_barrier
	global_load_dwordx4 v[4:7], v[24:25], off
	global_load_dwordx4 v[8:11], v[24:25], off offset:16
	global_load_dwordx4 v[12:15], v[24:25], off offset:32
	;; [unrolled: 1-line block ×9, first 2 shown]
	ds_read_b128 v[30:33], v114 offset:272
	ds_read_b128 v[40:43], v114 offset:544
	global_load_dwordx4 v[64:67], v[24:25], off offset:160
	global_load_dwordx4 v[68:71], v[24:25], off offset:176
	ds_read_b128 v[52:55], v114 offset:816
	ds_read_b128 v[0:3], v117
	ds_read_b128 v[72:75], v114 offset:1088
	ds_read_b128 v[76:79], v114 offset:1360
	s_add_i32 s9, 0, 0x7e70
	s_waitcnt vmcnt(11) lgkmcnt(5)
	v_mul_f64 v[34:35], v[32:33], v[6:7]
	v_mul_f64 v[6:7], v[30:31], v[6:7]
	s_waitcnt vmcnt(10) lgkmcnt(4)
	v_mul_f64 v[48:49], v[42:43], v[10:11]
	v_mul_f64 v[10:11], v[40:41], v[10:11]
	v_fma_f64 v[88:89], v[30:31], v[4:5], v[34:35]
	v_fma_f64 v[90:91], v[32:33], v[4:5], -v[6:7]
	v_fma_f64 v[48:49], v[40:41], v[8:9], v[48:49]
	v_fma_f64 v[50:51], v[42:43], v[8:9], -v[10:11]
	global_load_dwordx4 v[4:7], v[24:25], off offset:208
	global_load_dwordx4 v[80:83], v[24:25], off offset:192
	s_waitcnt vmcnt(11) lgkmcnt(3)
	v_mul_f64 v[8:9], v[54:55], v[14:15]
	v_mul_f64 v[10:11], v[52:53], v[14:15]
	s_waitcnt vmcnt(10) lgkmcnt(1)
	v_mul_f64 v[32:33], v[74:75], v[18:19]
	v_add_f64 v[14:15], v[0:1], v[88:89]
	v_add_f64 v[30:31], v[2:3], v[90:91]
	v_mul_f64 v[18:19], v[72:73], v[18:19]
	global_load_dwordx4 v[84:87], v[24:25], off offset:240
	v_fma_f64 v[52:53], v[52:53], v[12:13], v[8:9]
	v_fma_f64 v[54:55], v[54:55], v[12:13], -v[10:11]
	v_fma_f64 v[40:41], v[72:73], v[16:17], v[32:33]
	v_add_f64 v[12:13], v[14:15], v[48:49]
	v_add_f64 v[14:15], v[30:31], v[50:51]
	v_fma_f64 v[42:43], v[74:75], v[16:17], -v[18:19]
	global_load_dwordx4 v[72:75], v[24:25], off offset:224
	s_waitcnt vmcnt(11) lgkmcnt(0)
	v_mul_f64 v[16:17], v[78:79], v[22:23]
	v_mul_f64 v[18:19], v[76:77], v[22:23]
	ds_read_b128 v[8:11], v114 offset:1632
	v_add_f64 v[22:23], v[12:13], v[52:53]
	v_add_f64 v[24:25], v[14:15], v[54:55]
	ds_read_b128 v[12:15], v114 offset:1904
	s_waitcnt vmcnt(10) lgkmcnt(1)
	v_mul_f64 v[30:31], v[10:11], v[28:29]
	v_mul_f64 v[28:29], v[8:9], v[28:29]
	v_fma_f64 v[32:33], v[76:77], v[20:21], v[16:17]
	v_fma_f64 v[34:35], v[78:79], v[20:21], -v[18:19]
	v_add_f64 v[16:17], v[22:23], v[40:41]
	v_add_f64 v[18:19], v[24:25], v[42:43]
	ds_read_b128 v[20:23], v114 offset:2448
	v_fma_f64 v[24:25], v[8:9], v[26:27], v[30:31]
	v_fma_f64 v[26:27], v[10:11], v[26:27], -v[28:29]
	s_waitcnt vmcnt(9) lgkmcnt(1)
	v_mul_f64 v[28:29], v[14:15], v[38:39]
	v_mul_f64 v[30:31], v[12:13], v[38:39]
	ds_read_b128 v[8:11], v114 offset:2176
	v_add_f64 v[38:39], v[16:17], v[32:33]
	v_add_f64 v[76:77], v[18:19], v[34:35]
	s_waitcnt vmcnt(8) lgkmcnt(0)
	v_mul_f64 v[78:79], v[10:11], v[46:47]
	v_mul_f64 v[46:47], v[8:9], v[46:47]
	v_fma_f64 v[16:17], v[12:13], v[36:37], v[28:29]
	v_fma_f64 v[18:19], v[14:15], v[36:37], -v[30:31]
	v_add_f64 v[12:13], v[38:39], v[24:25]
	v_add_f64 v[14:15], v[76:77], v[26:27]
	ds_read_b128 v[28:31], v114 offset:2720
	ds_read_b128 v[36:39], v114 offset:2992
	v_fma_f64 v[8:9], v[8:9], v[44:45], v[78:79]
	v_fma_f64 v[10:11], v[10:11], v[44:45], -v[46:47]
	s_waitcnt vmcnt(7)
	v_mul_f64 v[44:45], v[22:23], v[58:59]
	v_mul_f64 v[46:47], v[20:21], v[58:59]
	v_add_f64 v[58:59], v[12:13], v[16:17]
	v_add_f64 v[76:77], v[14:15], v[18:19]
	s_waitcnt vmcnt(6) lgkmcnt(1)
	v_mul_f64 v[78:79], v[30:31], v[62:63]
	v_mul_f64 v[62:63], v[28:29], v[62:63]
	v_fma_f64 v[12:13], v[20:21], v[56:57], v[44:45]
	v_fma_f64 v[14:15], v[22:23], v[56:57], -v[46:47]
	v_add_f64 v[56:57], v[58:59], v[8:9]
	v_add_f64 v[58:59], v[76:77], v[10:11]
	v_fma_f64 v[20:21], v[28:29], v[60:61], v[78:79]
	v_fma_f64 v[22:23], v[30:31], v[60:61], -v[62:63]
	s_waitcnt vmcnt(5) lgkmcnt(0)
	v_mul_f64 v[28:29], v[38:39], v[66:67]
	v_mul_f64 v[30:31], v[36:37], v[66:67]
	ds_read_b128 v[44:47], v114 offset:3264
	v_add_f64 v[60:61], v[56:57], v[12:13]
	v_add_f64 v[62:63], v[58:59], v[14:15]
	ds_read_b128 v[56:59], v114 offset:3536
	s_waitcnt vmcnt(4) lgkmcnt(1)
	v_mul_f64 v[66:67], v[46:47], v[70:71]
	v_mul_f64 v[70:71], v[44:45], v[70:71]
	v_fma_f64 v[28:29], v[36:37], v[64:65], v[28:29]
	v_fma_f64 v[30:31], v[38:39], v[64:65], -v[30:31]
	v_add_f64 v[76:77], v[60:61], v[20:21]
	v_add_f64 v[78:79], v[62:63], v[22:23]
	ds_read_b128 v[60:63], v114 offset:4352
	v_fma_f64 v[36:37], v[44:45], v[68:69], v[66:67]
	v_fma_f64 v[38:39], v[46:47], v[68:69], -v[70:71]
	s_waitcnt vmcnt(2) lgkmcnt(1)
	v_mul_f64 v[44:45], v[58:59], v[82:83]
	v_mul_f64 v[46:47], v[56:57], v[82:83]
	ds_read_b128 v[64:67], v114 offset:3808
	ds_read_b128 v[68:71], v114 offset:4080
	v_add_f64 v[76:77], v[76:77], v[28:29]
	v_add_f64 v[78:79], v[78:79], v[30:31]
	s_waitcnt vmcnt(1) lgkmcnt(2)
	v_mul_f64 v[92:93], v[60:61], v[86:87]
	s_waitcnt lgkmcnt(1)
	v_mul_f64 v[82:83], v[66:67], v[6:7]
	v_mul_f64 v[6:7], v[64:65], v[6:7]
	v_fma_f64 v[44:45], v[56:57], v[80:81], v[44:45]
	v_fma_f64 v[46:47], v[58:59], v[80:81], -v[46:47]
	v_mul_f64 v[80:81], v[62:63], v[86:87]
	v_add_f64 v[76:77], v[76:77], v[36:37]
	v_add_f64 v[78:79], v[78:79], v[38:39]
	v_fma_f64 v[62:63], v[62:63], v[84:85], -v[92:93]
	v_fma_f64 v[56:57], v[64:65], v[4:5], v[82:83]
	v_fma_f64 v[58:59], v[66:67], v[4:5], -v[6:7]
	s_waitcnt vmcnt(0) lgkmcnt(0)
	v_mul_f64 v[4:5], v[70:71], v[74:75]
	v_mul_f64 v[6:7], v[68:69], v[74:75]
	v_fma_f64 v[60:61], v[60:61], v[84:85], v[80:81]
	v_add_f64 v[64:65], v[76:77], v[44:45]
	v_add_f64 v[66:67], v[78:79], v[46:47]
	v_add_f64 v[74:75], v[90:91], -v[62:63]
	v_add_f64 v[76:77], v[90:91], v[62:63]
	v_fma_f64 v[68:69], v[68:69], v[72:73], v[4:5]
	v_fma_f64 v[70:71], v[70:71], v[72:73], -v[6:7]
	v_add_f64 v[4:5], v[64:65], v[56:57]
	v_add_f64 v[6:7], v[66:67], v[58:59]
	v_add_f64 v[64:65], v[88:89], v[60:61]
	v_add_f64 v[66:67], v[88:89], -v[60:61]
	v_mul_f64 v[72:73], v[74:75], s[44:45]
	v_mul_f64 v[78:79], v[76:77], s[38:39]
	;; [unrolled: 1-line block ×4, first 2 shown]
	v_add_f64 v[4:5], v[4:5], v[68:69]
	v_add_f64 v[6:7], v[6:7], v[70:71]
	v_mul_f64 v[96:97], v[74:75], s[6:7]
	v_mul_f64 v[98:99], v[76:77], s[10:11]
	;; [unrolled: 1-line block ×6, first 2 shown]
	v_add_f64 v[4:5], v[4:5], v[60:61]
	v_add_f64 v[6:7], v[6:7], v[62:63]
	v_mul_f64 v[60:61], v[74:75], s[36:37]
	v_mul_f64 v[62:63], v[76:77], s[30:31]
	;; [unrolled: 1-line block ×4, first 2 shown]
	v_add_f64 v[137:138], v[50:51], -v[70:71]
	v_add_f64 v[50:51], v[50:51], v[70:71]
	v_mul_f64 v[70:71], v[74:75], s[58:59]
	v_mul_f64 v[74:75], v[76:77], s[60:61]
	v_fma_f64 v[80:81], v[64:65], s[38:39], v[72:73]
	v_fma_f64 v[82:83], v[66:67], s[42:43], v[78:79]
	v_fma_f64 v[72:73], v[64:65], s[38:39], -v[72:73]
	v_fma_f64 v[78:79], v[66:67], s[44:45], v[78:79]
	v_fma_f64 v[88:89], v[64:65], s[30:31], v[60:61]
	v_fma_f64 v[90:91], v[66:67], s[40:41], v[62:63]
	v_fma_f64 v[60:61], v[64:65], s[30:31], -v[60:61]
	v_fma_f64 v[62:63], v[66:67], s[36:37], v[62:63]
	;; [unrolled: 4-line block ×7, first 2 shown]
	v_add_f64 v[127:128], v[48:49], v[68:69]
	v_add_f64 v[48:49], v[48:49], -v[68:69]
	v_mul_f64 v[68:69], v[137:138], s[36:37]
	v_mul_f64 v[139:140], v[50:51], s[30:31]
	v_fma_f64 v[141:142], v[64:65], s[60:61], v[70:71]
	v_fma_f64 v[143:144], v[66:67], s[62:63], v[74:75]
	v_fma_f64 v[64:65], v[64:65], s[60:61], -v[70:71]
	v_fma_f64 v[66:67], v[66:67], s[58:59], v[74:75]
	v_add_f64 v[80:81], v[0:1], v[80:81]
	v_add_f64 v[82:83], v[2:3], v[82:83]
	;; [unrolled: 1-line block ×28, first 2 shown]
	v_fma_f64 v[76:77], v[127:128], s[30:31], v[68:69]
	v_fma_f64 v[125:126], v[48:49], s[40:41], v[139:140]
	v_add_f64 v[141:142], v[0:1], v[141:142]
	v_add_f64 v[143:144], v[2:3], v[143:144]
	;; [unrolled: 1-line block ×4, first 2 shown]
	v_mul_f64 v[64:65], v[137:138], s[6:7]
	v_mul_f64 v[66:67], v[50:51], s[10:11]
	v_add_f64 v[76:77], v[76:77], v[80:81]
	v_add_f64 v[80:81], v[125:126], v[82:83]
	v_fma_f64 v[68:69], v[127:128], s[30:31], -v[68:69]
	v_fma_f64 v[82:83], v[48:49], s[36:37], v[139:140]
	v_mul_f64 v[125:126], v[137:138], s[46:47]
	v_mul_f64 v[139:140], v[50:51], s[48:49]
	v_fma_f64 v[145:146], v[127:128], s[10:11], v[64:65]
	v_fma_f64 v[147:148], v[48:49], s[12:13], v[66:67]
	v_fma_f64 v[64:65], v[127:128], s[10:11], -v[64:65]
	v_fma_f64 v[66:67], v[48:49], s[6:7], v[66:67]
	v_add_f64 v[68:69], v[68:69], v[72:73]
	v_add_f64 v[72:73], v[82:83], v[78:79]
	v_fma_f64 v[78:79], v[127:128], s[48:49], v[125:126]
	v_fma_f64 v[82:83], v[48:49], s[50:51], v[139:140]
	v_add_f64 v[88:89], v[145:146], v[88:89]
	v_add_f64 v[90:91], v[147:148], v[90:91]
	;; [unrolled: 1-line block ×4, first 2 shown]
	v_mul_f64 v[64:65], v[137:138], s[58:59]
	v_mul_f64 v[66:67], v[50:51], s[60:61]
	v_add_f64 v[78:79], v[78:79], v[92:93]
	v_add_f64 v[82:83], v[82:83], v[94:95]
	v_fma_f64 v[92:93], v[127:128], s[48:49], -v[125:126]
	v_fma_f64 v[94:95], v[48:49], s[46:47], v[139:140]
	v_mul_f64 v[125:126], v[137:138], s[56:57]
	v_mul_f64 v[139:140], v[50:51], s[54:55]
	v_fma_f64 v[145:146], v[127:128], s[60:61], v[64:65]
	v_fma_f64 v[147:148], v[48:49], s[62:63], v[66:67]
	v_fma_f64 v[64:65], v[127:128], s[60:61], -v[64:65]
	v_fma_f64 v[66:67], v[48:49], s[58:59], v[66:67]
	v_add_f64 v[84:85], v[92:93], v[84:85]
	v_add_f64 v[86:87], v[94:95], v[86:87]
	v_fma_f64 v[92:93], v[127:128], s[54:55], v[125:126]
	v_fma_f64 v[94:95], v[48:49], s[52:53], v[139:140]
	v_add_f64 v[104:105], v[145:146], v[104:105]
	v_add_f64 v[106:107], v[147:148], v[106:107]
	v_add_f64 v[64:65], v[64:65], v[96:97]
	v_add_f64 v[66:67], v[66:67], v[98:99]
	v_mul_f64 v[96:97], v[137:138], s[26:27]
	v_mul_f64 v[98:99], v[50:51], s[24:25]
	v_add_f64 v[92:93], v[92:93], v[117:118]
	v_add_f64 v[94:95], v[94:95], v[119:120]
	v_mul_f64 v[117:118], v[137:138], s[20:21]
	v_mul_f64 v[119:120], v[50:51], s[34:35]
	v_fma_f64 v[125:126], v[127:128], s[54:55], -v[125:126]
	v_fma_f64 v[139:140], v[48:49], s[56:57], v[139:140]
	v_fma_f64 v[145:146], v[127:128], s[24:25], v[96:97]
	;; [unrolled: 1-line block ×3, first 2 shown]
	v_fma_f64 v[96:97], v[127:128], s[24:25], -v[96:97]
	v_fma_f64 v[98:99], v[48:49], s[26:27], v[98:99]
	v_fma_f64 v[149:150], v[127:128], s[34:35], v[117:118]
	;; [unrolled: 1-line block ×3, first 2 shown]
	v_add_f64 v[100:101], v[125:126], v[100:101]
	v_mul_f64 v[50:51], v[50:51], s[38:39]
	v_add_f64 v[125:126], v[145:146], v[129:130]
	v_add_f64 v[129:130], v[147:148], v[131:132]
	v_add_f64 v[131:132], v[54:55], -v[58:59]
	v_add_f64 v[54:55], v[54:55], v[58:59]
	v_add_f64 v[96:97], v[96:97], v[121:122]
	;; [unrolled: 1-line block ×5, first 2 shown]
	v_fma_f64 v[117:118], v[127:128], s[34:35], -v[117:118]
	v_fma_f64 v[119:120], v[48:49], s[20:21], v[119:120]
	v_add_f64 v[133:134], v[52:53], v[56:57]
	v_add_f64 v[52:53], v[52:53], -v[56:57]
	v_mul_f64 v[56:57], v[131:132], s[28:29]
	v_mul_f64 v[135:136], v[54:55], s[34:35]
	v_add_f64 v[102:103], v[139:140], v[102:103]
	v_mul_f64 v[58:59], v[137:138], s[42:43]
	v_fma_f64 v[139:140], v[48:49], s[44:45], v[50:51]
	v_fma_f64 v[48:49], v[48:49], s[42:43], v[50:51]
	v_add_f64 v[50:51], v[117:118], v[70:71]
	v_add_f64 v[70:71], v[119:120], v[74:75]
	v_fma_f64 v[74:75], v[133:134], s[34:35], v[56:57]
	v_fma_f64 v[117:118], v[52:53], s[20:21], v[135:136]
	v_fma_f64 v[56:57], v[133:134], s[34:35], -v[56:57]
	v_fma_f64 v[137:138], v[127:128], s[38:39], v[58:59]
	v_fma_f64 v[58:59], v[127:128], s[38:39], -v[58:59]
	v_add_f64 v[2:3], v[48:49], v[2:3]
	v_mul_f64 v[48:49], v[131:132], s[46:47]
	v_add_f64 v[127:128], v[139:140], v[143:144]
	v_add_f64 v[74:75], v[74:75], v[76:77]
	;; [unrolled: 1-line block ×3, first 2 shown]
	v_fma_f64 v[80:81], v[52:53], s[28:29], v[135:136]
	v_mul_f64 v[117:118], v[131:132], s[62:63]
	v_mul_f64 v[135:136], v[54:55], s[60:61]
	v_add_f64 v[119:120], v[137:138], v[141:142]
	v_add_f64 v[0:1], v[58:59], v[0:1]
	v_mul_f64 v[58:59], v[54:55], s[48:49]
	v_fma_f64 v[137:138], v[133:134], s[48:49], v[48:49]
	v_fma_f64 v[48:49], v[133:134], s[48:49], -v[48:49]
	v_add_f64 v[56:57], v[56:57], v[68:69]
	v_add_f64 v[68:69], v[80:81], v[72:73]
	v_fma_f64 v[72:73], v[133:134], s[60:61], v[117:118]
	v_fma_f64 v[80:81], v[52:53], s[58:59], v[135:136]
	;; [unrolled: 1-line block ×4, first 2 shown]
	v_add_f64 v[48:49], v[48:49], v[60:61]
	v_mul_f64 v[60:61], v[131:132], s[26:27]
	v_add_f64 v[88:89], v[137:138], v[88:89]
	v_add_f64 v[72:73], v[72:73], v[78:79]
	;; [unrolled: 1-line block ×3, first 2 shown]
	v_fma_f64 v[80:81], v[133:134], s[60:61], -v[117:118]
	v_mul_f64 v[117:118], v[131:132], s[40:41]
	v_add_f64 v[58:59], v[58:59], v[62:63]
	v_mul_f64 v[62:63], v[54:55], s[24:25]
	v_fma_f64 v[82:83], v[52:53], s[62:63], v[135:136]
	v_mul_f64 v[135:136], v[54:55], s[30:31]
	v_fma_f64 v[137:138], v[133:134], s[24:25], v[60:61]
	v_fma_f64 v[60:61], v[133:134], s[24:25], -v[60:61]
	v_add_f64 v[80:81], v[80:81], v[84:85]
	v_fma_f64 v[84:85], v[133:134], s[30:31], v[117:118]
	v_add_f64 v[90:91], v[139:140], v[90:91]
	v_fma_f64 v[139:140], v[52:53], s[14:15], v[62:63]
	v_fma_f64 v[62:63], v[52:53], s[26:27], v[62:63]
	v_add_f64 v[82:83], v[82:83], v[86:87]
	v_fma_f64 v[86:87], v[52:53], s[36:37], v[135:136]
	v_add_f64 v[60:61], v[60:61], v[64:65]
	v_mul_f64 v[64:65], v[131:132], s[44:45]
	v_add_f64 v[84:85], v[84:85], v[92:93]
	v_mul_f64 v[92:93], v[131:132], s[6:7]
	v_add_f64 v[104:105], v[137:138], v[104:105]
	v_add_f64 v[62:63], v[62:63], v[66:67]
	v_mul_f64 v[66:67], v[54:55], s[38:39]
	v_add_f64 v[86:87], v[86:87], v[94:95]
	v_mul_f64 v[94:95], v[54:55], s[10:11]
	v_fma_f64 v[137:138], v[133:134], s[38:39], v[64:65]
	v_fma_f64 v[64:65], v[133:134], s[38:39], -v[64:65]
	v_fma_f64 v[141:142], v[133:134], s[10:11], v[92:93]
	v_add_f64 v[106:107], v[139:140], v[106:107]
	v_fma_f64 v[117:118], v[133:134], s[30:31], -v[117:118]
	v_fma_f64 v[139:140], v[52:53], s[42:43], v[66:67]
	v_fma_f64 v[66:67], v[52:53], s[44:45], v[66:67]
	;; [unrolled: 1-line block ×4, first 2 shown]
	v_add_f64 v[64:65], v[64:65], v[96:97]
	v_add_f64 v[96:97], v[141:142], v[121:122]
	v_add_f64 v[121:122], v[42:43], -v[46:47]
	v_add_f64 v[42:43], v[42:43], v[46:47]
	v_add_f64 v[100:101], v[117:118], v[100:101]
	;; [unrolled: 1-line block ×6, first 2 shown]
	v_mul_f64 v[46:47], v[131:132], s[52:53]
	v_mul_f64 v[54:55], v[54:55], s[54:55]
	v_fma_f64 v[92:93], v[133:134], s[10:11], -v[92:93]
	v_fma_f64 v[94:95], v[52:53], s[6:7], v[94:95]
	v_add_f64 v[123:124], v[40:41], v[44:45]
	v_add_f64 v[40:41], v[40:41], -v[44:45]
	v_mul_f64 v[44:45], v[121:122], s[6:7]
	v_mul_f64 v[129:130], v[42:43], s[10:11]
	v_add_f64 v[102:103], v[135:136], v[102:103]
	v_fma_f64 v[131:132], v[133:134], s[54:55], v[46:47]
	v_fma_f64 v[135:136], v[52:53], s[56:57], v[54:55]
	v_fma_f64 v[46:47], v[133:134], s[54:55], -v[46:47]
	v_fma_f64 v[52:53], v[52:53], s[52:53], v[54:55]
	v_add_f64 v[50:51], v[92:93], v[50:51]
	v_add_f64 v[54:55], v[94:95], v[70:71]
	v_fma_f64 v[70:71], v[123:124], s[10:11], v[44:45]
	v_fma_f64 v[92:93], v[40:41], s[12:13], v[129:130]
	v_add_f64 v[94:95], v[131:132], v[119:120]
	v_add_f64 v[119:120], v[135:136], v[127:128]
	;; [unrolled: 1-line block ×4, first 2 shown]
	v_mul_f64 v[46:47], v[121:122], s[58:59]
	v_mul_f64 v[52:53], v[42:43], s[60:61]
	v_add_f64 v[70:71], v[70:71], v[74:75]
	v_add_f64 v[74:75], v[92:93], v[76:77]
	v_fma_f64 v[44:45], v[123:124], s[10:11], -v[44:45]
	v_fma_f64 v[76:77], v[40:41], s[6:7], v[129:130]
	v_mul_f64 v[92:93], v[121:122], s[26:27]
	v_mul_f64 v[127:128], v[42:43], s[24:25]
	v_fma_f64 v[129:130], v[123:124], s[60:61], v[46:47]
	v_fma_f64 v[131:132], v[40:41], s[62:63], v[52:53]
	v_fma_f64 v[46:47], v[123:124], s[60:61], -v[46:47]
	v_fma_f64 v[52:53], v[40:41], s[58:59], v[52:53]
	v_add_f64 v[44:45], v[44:45], v[56:57]
	v_add_f64 v[56:57], v[76:77], v[68:69]
	v_fma_f64 v[68:69], v[123:124], s[24:25], v[92:93]
	v_fma_f64 v[76:77], v[40:41], s[14:15], v[127:128]
	v_add_f64 v[88:89], v[129:130], v[88:89]
	v_add_f64 v[90:91], v[131:132], v[90:91]
	;; [unrolled: 1-line block ×4, first 2 shown]
	v_mul_f64 v[52:53], v[121:122], s[42:43]
	v_mul_f64 v[58:59], v[42:43], s[38:39]
	v_add_f64 v[68:69], v[68:69], v[72:73]
	v_add_f64 v[72:73], v[76:77], v[78:79]
	v_fma_f64 v[76:77], v[123:124], s[24:25], -v[92:93]
	v_mul_f64 v[92:93], v[121:122], s[28:29]
	v_fma_f64 v[78:79], v[40:41], s[26:27], v[127:128]
	v_mul_f64 v[127:128], v[42:43], s[34:35]
	v_fma_f64 v[129:130], v[123:124], s[38:39], v[52:53]
	v_fma_f64 v[52:53], v[123:124], s[38:39], -v[52:53]
	v_fma_f64 v[131:132], v[40:41], s[44:45], v[58:59]
	v_fma_f64 v[58:59], v[40:41], s[42:43], v[58:59]
	v_add_f64 v[76:77], v[76:77], v[80:81]
	v_fma_f64 v[80:81], v[123:124], s[34:35], v[92:93]
	v_add_f64 v[78:79], v[78:79], v[82:83]
	;; [unrolled: 2-line block ×3, first 2 shown]
	v_add_f64 v[52:53], v[52:53], v[60:61]
	v_mul_f64 v[60:61], v[121:122], s[52:53]
	v_add_f64 v[58:59], v[58:59], v[62:63]
	v_mul_f64 v[62:63], v[42:43], s[54:55]
	;; [unrolled: 2-line block ×4, first 2 shown]
	v_add_f64 v[106:107], v[131:132], v[106:107]
	v_fma_f64 v[129:130], v[123:124], s[54:55], v[60:61]
	v_fma_f64 v[60:61], v[123:124], s[54:55], -v[60:61]
	v_fma_f64 v[131:132], v[40:41], s[56:57], v[62:63]
	v_fma_f64 v[62:63], v[40:41], s[52:53], v[62:63]
	;; [unrolled: 1-line block ×3, first 2 shown]
	v_fma_f64 v[92:93], v[123:124], s[34:35], -v[92:93]
	v_fma_f64 v[135:136], v[40:41], s[46:47], v[86:87]
	v_fma_f64 v[127:128], v[40:41], s[28:29], v[127:128]
	v_mul_f64 v[42:43], v[42:43], s[30:31]
	v_add_f64 v[60:61], v[60:61], v[64:65]
	v_fma_f64 v[84:85], v[123:124], s[48:49], -v[84:85]
	v_add_f64 v[62:63], v[62:63], v[66:67]
	v_add_f64 v[64:65], v[133:134], v[96:97]
	v_add_f64 v[96:97], v[34:35], -v[38:39]
	v_add_f64 v[34:35], v[34:35], v[38:39]
	v_add_f64 v[66:67], v[135:136], v[98:99]
	v_mul_f64 v[38:39], v[121:122], s[40:41]
	v_fma_f64 v[86:87], v[40:41], s[50:51], v[86:87]
	v_add_f64 v[98:99], v[32:33], v[36:37]
	v_add_f64 v[32:33], v[32:33], -v[36:37]
	v_add_f64 v[92:93], v[92:93], v[100:101]
	v_mul_f64 v[36:37], v[96:97], s[14:15]
	v_mul_f64 v[121:122], v[34:35], s[24:25]
	v_add_f64 v[100:101], v[127:128], v[102:103]
	v_add_f64 v[102:103], v[129:130], v[117:118]
	;; [unrolled: 1-line block ×3, first 2 shown]
	v_fma_f64 v[125:126], v[123:124], s[30:31], v[38:39]
	v_fma_f64 v[127:128], v[40:41], s[36:37], v[42:43]
	v_fma_f64 v[38:39], v[123:124], s[30:31], -v[38:39]
	v_fma_f64 v[40:41], v[40:41], s[40:41], v[42:43]
	v_add_f64 v[42:43], v[84:85], v[50:51]
	v_add_f64 v[50:51], v[86:87], v[54:55]
	v_fma_f64 v[54:55], v[98:99], s[24:25], v[36:37]
	v_fma_f64 v[84:85], v[32:33], s[26:27], v[121:122]
	v_add_f64 v[86:87], v[125:126], v[94:95]
	v_add_f64 v[94:95], v[127:128], v[119:120]
	v_add_f64 v[0:1], v[38:39], v[0:1]
	v_mul_f64 v[38:39], v[96:97], s[56:57]
	v_fma_f64 v[36:37], v[98:99], s[24:25], -v[36:37]
	v_mul_f64 v[119:120], v[34:35], s[30:31]
	v_add_f64 v[54:55], v[54:55], v[70:71]
	v_add_f64 v[70:71], v[84:85], v[74:75]
	v_fma_f64 v[74:75], v[32:33], s[14:15], v[121:122]
	v_mul_f64 v[84:85], v[96:97], s[40:41]
	v_add_f64 v[2:3], v[40:41], v[2:3]
	v_mul_f64 v[40:41], v[34:35], s[54:55]
	v_fma_f64 v[121:122], v[98:99], s[54:55], v[38:39]
	v_fma_f64 v[38:39], v[98:99], s[54:55], -v[38:39]
	v_add_f64 v[36:37], v[36:37], v[44:45]
	v_add_f64 v[44:45], v[74:75], v[56:57]
	v_fma_f64 v[56:57], v[98:99], s[30:31], v[84:85]
	v_fma_f64 v[74:75], v[32:33], s[36:37], v[119:120]
	;; [unrolled: 1-line block ×4, first 2 shown]
	v_add_f64 v[38:39], v[38:39], v[46:47]
	v_mul_f64 v[46:47], v[96:97], s[28:29]
	v_add_f64 v[88:89], v[121:122], v[88:89]
	v_add_f64 v[56:57], v[56:57], v[68:69]
	;; [unrolled: 1-line block ×3, first 2 shown]
	v_fma_f64 v[72:73], v[98:99], s[30:31], -v[84:85]
	v_mul_f64 v[84:85], v[96:97], s[58:59]
	v_add_f64 v[40:41], v[40:41], v[48:49]
	v_mul_f64 v[48:49], v[34:35], s[34:35]
	v_fma_f64 v[74:75], v[32:33], s[40:41], v[119:120]
	v_mul_f64 v[119:120], v[34:35], s[60:61]
	v_fma_f64 v[121:122], v[98:99], s[34:35], v[46:47]
	v_fma_f64 v[46:47], v[98:99], s[34:35], -v[46:47]
	v_add_f64 v[72:73], v[72:73], v[76:77]
	v_fma_f64 v[76:77], v[98:99], s[60:61], v[84:85]
	v_add_f64 v[90:91], v[123:124], v[90:91]
	v_fma_f64 v[123:124], v[32:33], s[20:21], v[48:49]
	v_fma_f64 v[48:49], v[32:33], s[28:29], v[48:49]
	v_add_f64 v[74:75], v[74:75], v[78:79]
	v_fma_f64 v[78:79], v[32:33], s[62:63], v[119:120]
	v_add_f64 v[46:47], v[46:47], v[52:53]
	v_mul_f64 v[52:53], v[96:97], s[12:13]
	v_add_f64 v[76:77], v[76:77], v[80:81]
	v_mul_f64 v[80:81], v[96:97], s[44:45]
	v_add_f64 v[104:105], v[121:122], v[104:105]
	v_add_f64 v[48:49], v[48:49], v[58:59]
	v_mul_f64 v[58:59], v[34:35], s[10:11]
	v_add_f64 v[78:79], v[78:79], v[82:83]
	v_mul_f64 v[82:83], v[34:35], s[38:39]
	v_fma_f64 v[121:122], v[98:99], s[10:11], v[52:53]
	v_fma_f64 v[52:53], v[98:99], s[10:11], -v[52:53]
	v_fma_f64 v[125:126], v[98:99], s[38:39], v[80:81]
	v_add_f64 v[106:107], v[123:124], v[106:107]
	v_fma_f64 v[84:85], v[98:99], s[60:61], -v[84:85]
	v_fma_f64 v[123:124], v[32:33], s[6:7], v[58:59]
	v_fma_f64 v[58:59], v[32:33], s[12:13], v[58:59]
	;; [unrolled: 1-line block ×4, first 2 shown]
	v_add_f64 v[52:53], v[52:53], v[60:61]
	v_add_f64 v[60:61], v[125:126], v[64:65]
	v_add_f64 v[64:65], v[26:27], -v[30:31]
	v_add_f64 v[26:27], v[26:27], v[30:31]
	v_mul_f64 v[30:31], v[96:97], s[46:47]
	v_add_f64 v[58:59], v[58:59], v[62:63]
	v_add_f64 v[62:63], v[127:128], v[66:67]
	v_mul_f64 v[34:35], v[34:35], s[48:49]
	v_fma_f64 v[66:67], v[98:99], s[38:39], -v[80:81]
	v_fma_f64 v[80:81], v[32:33], s[44:45], v[82:83]
	v_add_f64 v[82:83], v[24:25], v[28:29]
	v_add_f64 v[24:25], v[24:25], -v[28:29]
	v_mul_f64 v[28:29], v[64:65], s[46:47]
	v_mul_f64 v[96:97], v[26:27], s[48:49]
	v_add_f64 v[84:85], v[84:85], v[92:93]
	v_add_f64 v[92:93], v[119:120], v[100:101]
	;; [unrolled: 1-line block ×4, first 2 shown]
	v_fma_f64 v[117:118], v[98:99], s[48:49], v[30:31]
	v_fma_f64 v[119:120], v[32:33], s[50:51], v[34:35]
	v_fma_f64 v[30:31], v[98:99], s[48:49], -v[30:31]
	v_fma_f64 v[32:33], v[32:33], s[46:47], v[34:35]
	v_add_f64 v[34:35], v[66:67], v[42:43]
	v_add_f64 v[42:43], v[80:81], v[50:51]
	v_fma_f64 v[50:51], v[82:83], s[48:49], v[28:29]
	v_fma_f64 v[66:67], v[24:25], s[50:51], v[96:97]
	v_add_f64 v[80:81], v[117:118], v[86:87]
	v_add_f64 v[86:87], v[119:120], v[94:95]
	;; [unrolled: 1-line block ×3, first 2 shown]
	v_mul_f64 v[30:31], v[64:65], s[26:27]
	v_fma_f64 v[28:29], v[82:83], s[48:49], -v[28:29]
	v_mul_f64 v[94:95], v[26:27], s[38:39]
	v_add_f64 v[50:51], v[50:51], v[54:55]
	v_add_f64 v[54:55], v[66:67], v[70:71]
	v_fma_f64 v[66:67], v[24:25], s[46:47], v[96:97]
	v_mul_f64 v[70:71], v[64:65], s[44:45]
	v_add_f64 v[2:3], v[32:33], v[2:3]
	v_mul_f64 v[32:33], v[26:27], s[24:25]
	v_fma_f64 v[96:97], v[82:83], s[24:25], v[30:31]
	v_fma_f64 v[30:31], v[82:83], s[24:25], -v[30:31]
	v_add_f64 v[28:29], v[28:29], v[36:37]
	v_add_f64 v[36:37], v[66:67], v[44:45]
	v_fma_f64 v[44:45], v[82:83], s[38:39], v[70:71]
	v_fma_f64 v[66:67], v[24:25], s[42:43], v[94:95]
	v_fma_f64 v[98:99], v[24:25], s[14:15], v[32:33]
	v_fma_f64 v[32:33], v[24:25], s[26:27], v[32:33]
	v_add_f64 v[30:31], v[30:31], v[38:39]
	v_mul_f64 v[38:39], v[64:65], s[52:53]
	v_add_f64 v[88:89], v[96:97], v[88:89]
	v_add_f64 v[44:45], v[44:45], v[56:57]
	;; [unrolled: 1-line block ×3, first 2 shown]
	v_fma_f64 v[66:67], v[82:83], s[38:39], -v[70:71]
	v_mul_f64 v[70:71], v[64:65], s[12:13]
	v_add_f64 v[32:33], v[32:33], v[40:41]
	v_mul_f64 v[40:41], v[26:27], s[54:55]
	v_fma_f64 v[68:69], v[24:25], s[44:45], v[94:95]
	v_mul_f64 v[94:95], v[26:27], s[10:11]
	v_fma_f64 v[96:97], v[82:83], s[54:55], v[38:39]
	v_fma_f64 v[38:39], v[82:83], s[54:55], -v[38:39]
	v_add_f64 v[66:67], v[66:67], v[72:73]
	v_fma_f64 v[72:73], v[82:83], s[10:11], v[70:71]
	v_add_f64 v[90:91], v[98:99], v[90:91]
	v_fma_f64 v[98:99], v[24:25], s[56:57], v[40:41]
	v_fma_f64 v[40:41], v[24:25], s[52:53], v[40:41]
	v_add_f64 v[68:69], v[68:69], v[74:75]
	v_fma_f64 v[74:75], v[24:25], s[6:7], v[94:95]
	v_add_f64 v[38:39], v[38:39], v[46:47]
	v_mul_f64 v[46:47], v[64:65], s[36:37]
	v_add_f64 v[72:73], v[72:73], v[76:77]
	v_mul_f64 v[76:77], v[64:65], s[58:59]
	v_add_f64 v[96:97], v[96:97], v[104:105]
	v_add_f64 v[40:41], v[40:41], v[48:49]
	v_mul_f64 v[48:49], v[26:27], s[30:31]
	v_add_f64 v[74:75], v[74:75], v[78:79]
	v_mul_f64 v[78:79], v[26:27], s[60:61]
	v_fma_f64 v[104:105], v[82:83], s[30:31], v[46:47]
	v_fma_f64 v[46:47], v[82:83], s[30:31], -v[46:47]
	v_fma_f64 v[117:118], v[82:83], s[60:61], v[76:77]
	v_add_f64 v[98:99], v[98:99], v[106:107]
	v_fma_f64 v[70:71], v[82:83], s[10:11], -v[70:71]
	v_fma_f64 v[106:107], v[24:25], s[40:41], v[48:49]
	v_fma_f64 v[48:49], v[24:25], s[36:37], v[48:49]
	;; [unrolled: 1-line block ×4, first 2 shown]
	v_add_f64 v[46:47], v[46:47], v[52:53]
	v_add_f64 v[52:53], v[117:118], v[60:61]
	v_add_f64 v[60:61], v[18:19], -v[22:23]
	v_add_f64 v[18:19], v[18:19], v[22:23]
	v_mul_f64 v[22:23], v[64:65], s[20:21]
	v_add_f64 v[48:49], v[48:49], v[58:59]
	v_add_f64 v[58:59], v[119:120], v[62:63]
	v_mul_f64 v[26:27], v[26:27], s[34:35]
	v_fma_f64 v[62:63], v[82:83], s[60:61], -v[76:77]
	v_add_f64 v[76:77], v[16:17], v[20:21]
	v_add_f64 v[16:17], v[16:17], -v[20:21]
	v_mul_f64 v[20:21], v[60:61], s[52:53]
	v_add_f64 v[70:71], v[70:71], v[84:85]
	v_add_f64 v[84:85], v[94:95], v[92:93]
	;; [unrolled: 1-line block ×4, first 2 shown]
	v_fma_f64 v[64:65], v[24:25], s[58:59], v[78:79]
	v_mul_f64 v[78:79], v[18:19], s[54:55]
	v_fma_f64 v[100:101], v[82:83], s[34:35], v[22:23]
	v_fma_f64 v[102:103], v[24:25], s[28:29], v[26:27]
	v_fma_f64 v[22:23], v[82:83], s[34:35], -v[22:23]
	v_fma_f64 v[24:25], v[24:25], s[20:21], v[26:27]
	v_fma_f64 v[26:27], v[76:77], s[54:55], v[20:21]
	v_add_f64 v[34:35], v[62:63], v[34:35]
	v_add_f64 v[62:63], v[64:65], v[42:43]
	v_fma_f64 v[42:43], v[16:17], s[56:57], v[78:79]
	v_add_f64 v[64:65], v[100:101], v[80:81]
	v_add_f64 v[80:81], v[102:103], v[86:87]
	v_mul_f64 v[82:83], v[60:61], s[20:21]
	v_mul_f64 v[86:87], v[18:19], s[34:35]
	v_add_f64 v[22:23], v[22:23], v[0:1]
	v_add_f64 v[26:27], v[26:27], v[50:51]
	v_fma_f64 v[0:1], v[76:77], s[54:55], -v[20:21]
	v_mul_f64 v[50:51], v[60:61], s[6:7]
	v_add_f64 v[24:25], v[24:25], v[2:3]
	v_add_f64 v[100:101], v[42:43], v[54:55]
	v_fma_f64 v[2:3], v[16:17], s[52:53], v[78:79]
	v_fma_f64 v[20:21], v[76:77], s[34:35], v[82:83]
	;; [unrolled: 1-line block ×3, first 2 shown]
	v_mul_f64 v[54:55], v[18:19], s[10:11]
	v_fma_f64 v[78:79], v[76:77], s[34:35], -v[82:83]
	v_fma_f64 v[82:83], v[16:17], s[20:21], v[86:87]
	v_add_f64 v[28:29], v[0:1], v[28:29]
	v_fma_f64 v[0:1], v[76:77], s[10:11], v[50:51]
	v_add_f64 v[86:87], v[2:3], v[36:37]
	v_add_f64 v[20:21], v[20:21], v[88:89]
	;; [unrolled: 1-line block ×3, first 2 shown]
	v_fma_f64 v[2:3], v[16:17], s[12:13], v[54:55]
	v_add_f64 v[78:79], v[78:79], v[30:31]
	v_add_f64 v[90:91], v[82:83], v[32:33]
	v_mul_f64 v[30:31], v[60:61], s[50:51]
	v_mul_f64 v[32:33], v[18:19], s[48:49]
	v_fma_f64 v[36:37], v[76:77], s[10:11], -v[50:51]
	v_add_f64 v[102:103], v[0:1], v[44:45]
	v_mul_f64 v[0:1], v[60:61], s[44:45]
	v_fma_f64 v[42:43], v[16:17], s[6:7], v[54:55]
	v_add_f64 v[56:57], v[2:3], v[56:57]
	v_mul_f64 v[2:3], v[18:19], s[38:39]
	v_fma_f64 v[44:45], v[76:77], s[48:49], v[30:31]
	v_fma_f64 v[50:51], v[16:17], s[46:47], v[32:33]
	v_add_f64 v[66:67], v[36:37], v[66:67]
	v_fma_f64 v[30:31], v[76:77], s[48:49], -v[30:31]
	v_fma_f64 v[36:37], v[76:77], s[38:39], v[0:1]
	v_add_f64 v[68:69], v[42:43], v[68:69]
	v_fma_f64 v[32:33], v[16:17], s[50:51], v[32:33]
	v_fma_f64 v[42:43], v[16:17], s[42:43], v[2:3]
	v_add_f64 v[96:97], v[44:45], v[96:97]
	v_add_f64 v[98:99], v[50:51], v[98:99]
	v_mul_f64 v[44:45], v[60:61], s[58:59]
	v_mul_f64 v[50:51], v[18:19], s[60:61]
	v_add_f64 v[104:105], v[30:31], v[38:39]
	v_add_f64 v[72:73], v[36:37], v[72:73]
	v_fma_f64 v[0:1], v[76:77], s[38:39], -v[0:1]
	v_fma_f64 v[2:3], v[16:17], s[44:45], v[2:3]
	v_mul_f64 v[36:37], v[60:61], s[40:41]
	v_mul_f64 v[38:39], v[18:19], s[30:31]
	v_add_f64 v[106:107], v[32:33], v[40:41]
	v_add_f64 v[74:75], v[42:43], v[74:75]
	v_fma_f64 v[30:31], v[76:77], s[60:61], v[44:45]
	v_fma_f64 v[32:33], v[16:17], s[62:63], v[50:51]
	v_fma_f64 v[40:41], v[76:77], s[60:61], -v[44:45]
	v_fma_f64 v[42:43], v[16:17], s[58:59], v[50:51]
	v_add_f64 v[70:71], v[0:1], v[70:71]
	v_add_f64 v[117:118], v[2:3], v[84:85]
	v_fma_f64 v[0:1], v[76:77], s[30:31], v[36:37]
	v_fma_f64 v[2:3], v[16:17], s[36:37], v[38:39]
	v_add_f64 v[119:120], v[30:31], v[92:93]
	v_add_f64 v[121:122], v[32:33], v[94:95]
	;; [unrolled: 1-line block ×4, first 2 shown]
	v_mul_f64 v[30:31], v[60:61], s[14:15]
	v_fma_f64 v[32:33], v[76:77], s[30:31], -v[36:37]
	v_fma_f64 v[36:37], v[16:17], s[40:41], v[38:39]
	v_mul_f64 v[18:19], v[18:19], s[24:25]
	v_add_f64 v[40:41], v[0:1], v[52:53]
	v_add_f64 v[42:43], v[2:3], v[58:59]
	v_add_f64 v[58:59], v[10:11], -v[14:15]
	v_add_f64 v[52:53], v[10:11], v[14:15]
	v_fma_f64 v[0:1], v[76:77], s[24:25], v[30:31]
	v_add_f64 v[54:55], v[32:33], v[34:35]
	v_add_f64 v[38:39], v[36:37], v[62:63]
	v_fma_f64 v[2:3], v[16:17], s[26:27], v[18:19]
	v_add_f64 v[34:35], v[8:9], v[12:13]
	v_add_f64 v[36:37], v[8:9], -v[12:13]
	v_mul_f64 v[8:9], v[58:59], s[58:59]
	v_mul_f64 v[10:11], v[52:53], s[60:61]
	v_fma_f64 v[12:13], v[76:77], s[24:25], -v[30:31]
	v_fma_f64 v[14:15], v[16:17], s[14:15], v[18:19]
	v_mul_f64 v[16:17], v[58:59], s[42:43]
	v_mul_f64 v[18:19], v[52:53], s[38:39]
	v_add_f64 v[48:49], v[0:1], v[64:65]
	v_add_f64 v[0:1], v[2:3], v[80:81]
	v_fma_f64 v[30:31], v[34:35], s[60:61], v[8:9]
	v_fma_f64 v[46:47], v[36:37], s[62:63], v[10:11]
	v_fma_f64 v[60:61], v[34:35], s[60:61], -v[8:9]
	v_add_f64 v[2:3], v[12:13], v[22:23]
	v_add_f64 v[32:33], v[14:15], v[24:25]
	v_fma_f64 v[10:11], v[36:37], s[58:59], v[10:11]
	v_fma_f64 v[12:13], v[34:35], s[38:39], v[16:17]
	;; [unrolled: 1-line block ×3, first 2 shown]
	v_mul_f64 v[22:23], v[58:59], s[52:53]
	v_mul_f64 v[24:25], v[52:53], s[54:55]
	v_add_f64 v[8:9], v[30:31], v[26:27]
	v_add_f64 v[80:81], v[60:61], v[28:29]
	v_mul_f64 v[26:27], v[52:53], s[30:31]
	v_add_f64 v[82:83], v[10:11], v[86:87]
	v_add_f64 v[28:29], v[12:13], v[20:21]
	;; [unrolled: 1-line block ×3, first 2 shown]
	v_fma_f64 v[12:13], v[34:35], s[38:39], -v[16:17]
	v_fma_f64 v[14:15], v[36:37], s[42:43], v[18:19]
	v_mul_f64 v[18:19], v[58:59], s[40:41]
	v_fma_f64 v[16:17], v[34:35], s[54:55], v[22:23]
	v_fma_f64 v[20:21], v[36:37], s[56:57], v[24:25]
	v_fma_f64 v[22:23], v[34:35], s[54:55], -v[22:23]
	v_fma_f64 v[24:25], v[36:37], s[52:53], v[24:25]
	v_add_f64 v[30:31], v[46:47], v[100:101]
	v_mul_f64 v[60:61], v[52:53], s[34:35]
	v_add_f64 v[86:87], v[14:15], v[90:91]
	v_fma_f64 v[46:47], v[34:35], s[30:31], v[18:19]
	v_add_f64 v[84:85], v[12:13], v[78:79]
	v_add_f64 v[14:15], v[20:21], v[56:57]
	v_fma_f64 v[20:21], v[36:37], s[36:37], v[26:27]
	v_add_f64 v[88:89], v[22:23], v[66:67]
	v_add_f64 v[90:91], v[24:25], v[68:69]
	v_mul_f64 v[24:25], v[52:53], s[48:49]
	v_fma_f64 v[26:27], v[36:37], s[40:41], v[26:27]
	v_mul_f64 v[66:67], v[58:59], s[20:21]
	v_mul_f64 v[22:23], v[58:59], s[46:47]
	v_add_f64 v[12:13], v[16:17], v[102:103]
	v_add_f64 v[16:17], v[46:47], v[96:97]
	v_fma_f64 v[46:47], v[34:35], s[30:31], -v[18:19]
	v_fma_f64 v[68:69], v[36:37], s[28:29], v[60:61]
	v_fma_f64 v[56:57], v[36:37], s[50:51], v[24:25]
	v_add_f64 v[94:95], v[26:27], v[106:107]
	v_fma_f64 v[24:25], v[36:37], s[46:47], v[24:25]
	v_fma_f64 v[26:27], v[34:35], s[34:35], v[66:67]
	v_fma_f64 v[62:63], v[34:35], s[48:49], -v[22:23]
	v_add_f64 v[18:19], v[20:21], v[98:99]
	v_fma_f64 v[20:21], v[34:35], s[48:49], v[22:23]
	v_mul_lo_u32 v100, v116, v115
	v_add_f64 v[92:93], v[46:47], v[104:105]
	v_add_f64 v[22:23], v[56:57], v[74:75]
	;; [unrolled: 1-line block ×5, first 2 shown]
	v_lshrrev_b32_e32 v69, 1, v100
	v_add_f64 v[56:57], v[62:63], v[70:71]
	v_mul_f64 v[62:63], v[52:53], s[24:25]
	v_and_b32_e32 v68, 31, v100
	v_and_b32_e32 v69, 0x1f0, v69
	v_add_f64 v[20:21], v[20:21], v[72:73]
	v_lshl_add_u32 v68, v68, 4, 0
	v_add_u32_e32 v72, s9, v69
	ds_read_b128 v[68:71], v68 offset:32368
	ds_read_b128 v[72:75], v72 offset:512
	v_mul_f64 v[64:65], v[58:59], s[14:15]
	v_fma_f64 v[60:61], v[36:37], s[20:21], v[60:61]
	v_fma_f64 v[78:79], v[36:37], s[26:27], v[62:63]
	v_fma_f64 v[66:67], v[34:35], s[34:35], -v[66:67]
	s_waitcnt lgkmcnt(0)
	v_mul_f64 v[96:97], v[70:71], v[74:75]
	v_mul_f64 v[74:75], v[68:69], v[74:75]
	;; [unrolled: 1-line block ×3, first 2 shown]
	v_lshrrev_b32_e32 v52, 6, v100
	v_fma_f64 v[76:77], v[34:35], s[24:25], v[64:65]
	v_fma_f64 v[64:65], v[34:35], s[24:25], -v[64:65]
	v_add_f64 v[50:51], v[60:61], v[50:51]
	v_add_f64 v[60:61], v[78:79], v[42:43]
	v_fma_f64 v[104:105], v[68:69], v[72:73], -v[96:97]
	v_lshl_add_u32 v68, v115, 4, v115
	v_add_u32_e32 v79, v100, v68
	v_add_f64 v[44:45], v[66:67], v[44:45]
	v_mul_f64 v[66:67], v[58:59], s[12:13]
	v_lshrrev_b32_e32 v69, 1, v79
	v_and_b32_e32 v52, 0x1f0, v52
	v_and_b32_e32 v53, 31, v79
	;; [unrolled: 1-line block ×3, first 2 shown]
	v_fma_f64 v[42:43], v[36:37], s[14:15], v[62:63]
	v_add_u32_e32 v52, s9, v52
	v_lshl_add_u32 v62, v53, 4, 0
	v_add_u32_e32 v69, s9, v69
	v_add_f64 v[58:59], v[76:77], v[40:41]
	v_add_f64 v[40:41], v[64:65], v[54:55]
	v_fma_f64 v[106:107], v[70:71], v[72:73], v[74:75]
	ds_read_b128 v[52:55], v52 offset:1024
	ds_read_b128 v[62:65], v62 offset:32368
	;; [unrolled: 1-line block ×3, first 2 shown]
	v_lshrrev_b32_e32 v73, 6, v79
	v_and_b32_e32 v73, 0x1f0, v73
	v_add_u32_e32 v73, s9, v73
	ds_read_b128 v[73:76], v73 offset:1024
	v_fma_f64 v[77:78], v[34:35], s[10:11], v[66:67]
	s_waitcnt lgkmcnt(1)
	v_mul_f64 v[96:97], v[64:65], v[71:72]
	v_add_f64 v[42:43], v[42:43], v[38:39]
	v_fma_f64 v[38:39], v[36:37], s[6:7], v[98:99]
	v_fma_f64 v[66:67], v[34:35], s[10:11], -v[66:67]
	v_mul_f64 v[34:35], v[104:105], v[54:55]
	v_mul_f64 v[115:116], v[106:107], v[54:55]
	v_add_f64 v[48:49], v[77:78], v[48:49]
	v_fma_f64 v[77:78], v[36:37], s[12:13], v[98:99]
	v_fma_f64 v[117:118], v[62:63], v[69:70], -v[96:97]
	v_mul_f64 v[36:37], v[62:63], v[71:72]
	v_add_u32_e32 v71, v79, v68
	v_and_b32_e32 v54, 31, v71
	v_lshrrev_b32_e32 v55, 1, v71
	v_lshl_add_u32 v54, v54, 4, 0
	v_and_b32_e32 v55, 0x1f0, v55
	v_add_u32_e32 v55, s9, v55
	ds_read_b128 v[96:99], v54 offset:32368
	ds_read_b128 v[100:103], v55 offset:512
	v_fma_f64 v[54:55], v[52:53], v[106:107], v[34:35]
	v_add_f64 v[34:35], v[38:39], v[0:1]
	v_fma_f64 v[0:1], v[64:65], v[69:70], v[36:37]
	s_waitcnt lgkmcnt(2)
	v_mul_f64 v[62:63], v[117:118], v[75:76]
	s_waitcnt lgkmcnt(0)
	v_mul_f64 v[64:65], v[98:99], v[102:103]
	v_add_f64 v[36:37], v[66:67], v[2:3]
	v_fma_f64 v[2:3], v[52:53], v[104:105], -v[115:116]
	v_add_u32_e32 v79, v71, v68
	v_add_f64 v[38:39], v[77:78], v[32:33]
	v_mul_f64 v[32:33], v[6:7], v[54:55]
	v_mul_f64 v[104:105], v[0:1], v[75:76]
	v_fma_f64 v[106:107], v[73:74], v[0:1], v[62:63]
	v_lshrrev_b32_e32 v0, 6, v71
	v_and_b32_e32 v0, 0x1f0, v0
	v_add_u32_e32 v0, s9, v0
	v_and_b32_e32 v1, 31, v79
	v_mul_f64 v[66:67], v[4:5], v[54:55]
	v_fma_f64 v[115:116], v[96:97], v[100:101], -v[64:65]
	v_lshl_add_u32 v1, v1, 4, 0
	ds_read_b128 v[52:55], v0 offset:1024
	ds_read_b128 v[62:65], v1 offset:32368
	v_lshrrev_b32_e32 v0, 1, v79
	v_and_b32_e32 v0, 0x1f0, v0
	v_add_u32_e32 v0, s9, v0
	ds_read_b128 v[69:72], v0 offset:512
	v_mul_f64 v[96:97], v[96:97], v[102:103]
	v_lshrrev_b32_e32 v0, 6, v79
	v_and_b32_e32 v0, 0x1f0, v0
	v_add_u32_e32 v0, s9, v0
	s_waitcnt lgkmcnt(0)
	v_mul_f64 v[102:103], v[64:65], v[71:72]
	ds_read_b128 v[75:78], v0 offset:1024
	v_fma_f64 v[0:1], v[4:5], v[2:3], v[32:33]
	v_fma_f64 v[2:3], v[6:7], v[2:3], -v[66:67]
	v_fma_f64 v[66:67], v[98:99], v[100:101], v[96:97]
	v_add_u32_e32 v79, v79, v68
	v_fma_f64 v[6:7], v[73:74], v[117:118], -v[104:105]
	v_mul_f64 v[4:5], v[30:31], v[106:107]
	v_fma_f64 v[102:103], v[62:63], v[69:70], -v[102:103]
	v_mul_f64 v[62:63], v[62:63], v[71:72]
	v_lshrrev_b32_e32 v72, 1, v79
	v_and_b32_e32 v71, 31, v79
	v_and_b32_e32 v72, 0x1f0, v72
	v_mul_f64 v[32:33], v[8:9], v[106:107]
	v_lshl_add_u32 v71, v71, 4, 0
	v_add_u32_e32 v96, s9, v72
	v_mul_f64 v[100:101], v[115:116], v[54:55]
	ds_read_b128 v[71:74], v71 offset:32368
	ds_read_b128 v[96:99], v96 offset:512
	v_fma_f64 v[62:63], v[64:65], v[69:70], v[62:63]
	s_waitcnt lgkmcnt(2)
	v_mul_f64 v[64:65], v[102:103], v[77:78]
	v_mul_f64 v[54:55], v[66:67], v[54:55]
	v_fma_f64 v[4:5], v[8:9], v[6:7], v[4:5]
	s_waitcnt lgkmcnt(0)
	v_mul_f64 v[69:70], v[73:74], v[98:99]
	v_fma_f64 v[6:7], v[30:31], v[6:7], -v[32:33]
	v_lshrrev_b32_e32 v30, 6, v79
	v_add_u32_e32 v79, v79, v68
	v_fma_f64 v[66:67], v[52:53], v[66:67], v[100:101]
	v_mul_f64 v[98:99], v[71:72], v[98:99]
	v_mul_f64 v[77:78], v[62:63], v[77:78]
	v_fma_f64 v[104:105], v[75:76], v[62:63], v[64:65]
	v_lshrrev_b32_e32 v62, 1, v79
	v_and_b32_e32 v30, 0x1f0, v30
	v_and_b32_e32 v31, 31, v79
	;; [unrolled: 1-line block ×3, first 2 shown]
	v_fma_f64 v[100:101], v[52:53], v[115:116], -v[54:55]
	v_add_u32_e32 v30, s9, v30
	v_lshl_add_u32 v52, v31, 4, 0
	v_add_u32_e32 v62, s9, v62
	ds_read_b128 v[30:33], v30 offset:1024
	ds_read_b128 v[52:55], v52 offset:32368
	;; [unrolled: 1-line block ×3, first 2 shown]
	v_fma_f64 v[106:107], v[71:72], v[96:97], -v[69:70]
	v_lshrrev_b32_e32 v69, 6, v79
	v_and_b32_e32 v69, 0x1f0, v69
	v_add_u32_e32 v69, s9, v69
	ds_read_b128 v[69:72], v69 offset:1024
	v_mul_f64 v[8:9], v[10:11], v[66:67]
	v_fma_f64 v[96:97], v[73:74], v[96:97], v[98:99]
	s_waitcnt lgkmcnt(1)
	v_mul_f64 v[73:74], v[54:55], v[64:65]
	v_add_u32_e32 v79, v79, v68
	v_fma_f64 v[77:78], v[75:76], v[102:103], -v[77:78]
	v_mul_f64 v[98:99], v[14:15], v[104:105]
	v_mul_f64 v[102:103], v[12:13], v[104:105]
	v_fma_f64 v[8:9], v[28:29], v[100:101], v[8:9]
	v_mul_f64 v[28:29], v[28:29], v[66:67]
	v_fma_f64 v[115:116], v[52:53], v[62:63], -v[73:74]
	v_mul_f64 v[52:53], v[52:53], v[64:65]
	v_lshrrev_b32_e32 v65, 1, v79
	v_and_b32_e32 v64, 31, v79
	v_and_b32_e32 v65, 0x1f0, v65
	v_lshl_add_u32 v64, v64, 4, 0
	v_add_u32_e32 v73, s9, v65
	ds_read_b128 v[64:67], v64 offset:32368
	ds_read_b128 v[73:76], v73 offset:512
	v_fma_f64 v[10:11], v[10:11], v[100:101], -v[28:29]
	v_fma_f64 v[28:29], v[54:55], v[62:63], v[52:53]
	s_waitcnt lgkmcnt(2)
	v_mul_f64 v[52:53], v[115:116], v[71:72]
	v_mul_f64 v[104:105], v[96:97], v[32:33]
	;; [unrolled: 1-line block ×3, first 2 shown]
	s_waitcnt lgkmcnt(0)
	v_mul_f64 v[54:55], v[66:67], v[75:76]
	v_fma_f64 v[14:15], v[14:15], v[77:78], -v[102:103]
	v_fma_f64 v[12:13], v[12:13], v[77:78], v[98:99]
	v_mul_f64 v[71:72], v[28:29], v[71:72]
	v_fma_f64 v[100:101], v[69:70], v[28:29], v[52:53]
	v_lshrrev_b32_e32 v28, 6, v79
	v_add_u32_e32 v79, v79, v68
	v_lshrrev_b32_e32 v62, 1, v79
	v_and_b32_e32 v28, 0x1f0, v28
	v_and_b32_e32 v29, 31, v79
	;; [unrolled: 1-line block ×3, first 2 shown]
	v_fma_f64 v[32:33], v[30:31], v[96:97], v[32:33]
	v_add_u32_e32 v28, s9, v28
	v_lshl_add_u32 v52, v29, 4, 0
	v_add_u32_e32 v62, s9, v62
	v_fma_f64 v[96:97], v[30:31], v[106:107], -v[104:105]
	v_fma_f64 v[102:103], v[64:65], v[73:74], -v[54:55]
	v_mul_f64 v[104:105], v[64:65], v[75:76]
	ds_read_b128 v[28:31], v28 offset:1024
	ds_read_b128 v[52:55], v52 offset:32368
	;; [unrolled: 1-line block ×3, first 2 shown]
	v_lshrrev_b32_e32 v75, 6, v79
	v_and_b32_e32 v75, 0x1f0, v75
	v_add_u32_e32 v75, s9, v75
	ds_read_b128 v[75:78], v75 offset:1024
	s_waitcnt lgkmcnt(1)
	v_mul_f64 v[106:107], v[54:55], v[64:65]
	v_mul_f64 v[98:99], v[18:19], v[32:33]
	;; [unrolled: 1-line block ×3, first 2 shown]
	v_fma_f64 v[73:74], v[66:67], v[73:74], v[104:105]
	v_add_u32_e32 v79, v79, v68
	v_fma_f64 v[104:105], v[52:53], v[62:63], -v[106:107]
	v_mul_f64 v[52:53], v[52:53], v[64:65]
	v_lshrrev_b32_e32 v65, 1, v79
	v_and_b32_e32 v64, 31, v79
	v_and_b32_e32 v65, 0x1f0, v65
	v_fma_f64 v[18:19], v[18:19], v[96:97], -v[32:33]
	v_fma_f64 v[32:33], v[69:70], v[115:116], -v[71:72]
	v_lshl_add_u32 v64, v64, 4, 0
	v_add_u32_e32 v69, s9, v65
	ds_read_b128 v[64:67], v64 offset:32368
	ds_read_b128 v[69:72], v69 offset:512
	v_fma_f64 v[16:17], v[16:17], v[96:97], v[98:99]
	v_mul_f64 v[96:97], v[22:23], v[100:101]
	v_mul_f64 v[98:99], v[20:21], v[100:101]
	;; [unrolled: 1-line block ×4, first 2 shown]
	v_fma_f64 v[52:53], v[54:55], v[62:63], v[52:53]
	s_waitcnt lgkmcnt(0)
	v_mul_f64 v[62:63], v[66:67], v[71:72]
	v_mul_f64 v[54:55], v[104:105], v[77:78]
	;; [unrolled: 1-line block ×3, first 2 shown]
	v_fma_f64 v[20:21], v[20:21], v[32:33], v[96:97]
	v_fma_f64 v[22:23], v[22:23], v[32:33], -v[98:99]
	v_fma_f64 v[73:74], v[28:29], v[73:74], v[100:101]
	v_fma_f64 v[96:97], v[28:29], v[102:103], -v[30:31]
	v_lshrrev_b32_e32 v30, 6, v79
	v_add_u32_e32 v79, v79, v68
	v_fma_f64 v[100:101], v[64:65], v[69:70], -v[62:63]
	v_lshrrev_b32_e32 v62, 1, v79
	v_and_b32_e32 v30, 0x1f0, v30
	v_and_b32_e32 v31, 31, v79
	;; [unrolled: 1-line block ×3, first 2 shown]
	v_add_u32_e32 v30, s9, v30
	v_lshl_add_u32 v31, v31, 4, 0
	v_add_u32_e32 v62, s9, v62
	v_mul_f64 v[77:78], v[52:53], v[77:78]
	v_fma_f64 v[98:99], v[75:76], v[52:53], v[54:55]
	ds_read_b128 v[52:55], v30 offset:1024
	ds_read_b128 v[30:33], v31 offset:32368
	;; [unrolled: 1-line block ×3, first 2 shown]
	v_fma_f64 v[66:67], v[66:67], v[69:70], v[71:72]
	v_lshrrev_b32_e32 v69, 6, v79
	v_and_b32_e32 v69, 0x1f0, v69
	v_add_u32_e32 v69, s9, v69
	ds_read_b128 v[69:72], v69 offset:1024
	s_waitcnt lgkmcnt(1)
	v_mul_f64 v[102:103], v[32:33], v[64:65]
	v_mul_f64 v[64:65], v[30:31], v[64:65]
	v_fma_f64 v[75:76], v[75:76], v[104:105], -v[77:78]
	v_mul_f64 v[104:105], v[66:67], v[54:55]
	v_mul_f64 v[54:55], v[100:101], v[54:55]
	;; [unrolled: 1-line block ×5, first 2 shown]
	v_fma_f64 v[102:103], v[30:31], v[62:63], -v[102:103]
	v_fma_f64 v[32:33], v[32:33], v[62:63], v[64:65]
	v_mul_f64 v[98:99], v[58:59], v[98:99]
	v_add_u32_e32 v64, v79, v68
	v_fma_f64 v[100:101], v[52:53], v[100:101], -v[104:105]
	v_fma_f64 v[66:67], v[52:53], v[66:67], v[54:55]
	v_lshrrev_b32_e32 v53, 1, v64
	v_and_b32_e32 v52, 31, v64
	s_waitcnt lgkmcnt(0)
	v_mul_f64 v[62:63], v[102:103], v[71:72]
	v_mul_f64 v[106:107], v[32:33], v[71:72]
	v_and_b32_e32 v53, 0x1f0, v53
	v_add_u32_e32 v79, v64, v68
	v_fma_f64 v[28:29], v[24:25], v[96:97], v[28:29]
	v_fma_f64 v[24:25], v[58:59], v[75:76], v[77:78]
	v_lshl_add_u32 v52, v52, 4, 0
	v_add_u32_e32 v58, s9, v53
	v_fma_f64 v[115:116], v[69:70], v[32:33], v[62:63]
	v_lshrrev_b32_e32 v32, 6, v64
	v_and_b32_e32 v32, 0x1f0, v32
	v_add_u32_e32 v32, s9, v32
	v_and_b32_e32 v33, 31, v79
	v_fma_f64 v[30:31], v[26:27], v[96:97], -v[73:74]
	v_fma_f64 v[26:27], v[60:61], v[75:76], -v[98:99]
	ds_read_b128 v[52:55], v52 offset:32368
	ds_read_b128 v[58:61], v58 offset:512
	v_lshl_add_u32 v33, v33, 4, 0
	ds_read_b128 v[62:65], v32 offset:1024
	ds_read_b128 v[71:74], v33 offset:32368
	v_lshrrev_b32_e32 v32, 1, v79
	v_and_b32_e32 v32, 0x1f0, v32
	v_add_u32_e32 v32, s9, v32
	ds_read_b128 v[75:78], v32 offset:512
	v_mul_f64 v[104:105], v[34:35], v[66:67]
	s_waitcnt lgkmcnt(3)
	v_mul_f64 v[117:118], v[54:55], v[60:61]
	v_mul_f64 v[66:67], v[48:49], v[66:67]
	v_lshrrev_b32_e32 v32, 6, v79
	s_waitcnt lgkmcnt(0)
	v_mul_f64 v[119:120], v[73:74], v[77:78]
	v_and_b32_e32 v32, 0x1f0, v32
	v_add_u32_e32 v32, s9, v32
	ds_read_b128 v[96:99], v32 offset:1024
	v_fma_f64 v[32:33], v[48:49], v[100:101], v[104:105]
	v_fma_f64 v[48:49], v[69:70], v[102:103], -v[106:107]
	v_fma_f64 v[106:107], v[52:53], v[58:59], -v[117:118]
	v_mul_f64 v[52:53], v[52:53], v[60:61]
	v_mul_f64 v[60:61], v[71:72], v[77:78]
	v_add_u32_e32 v79, v79, v68
	v_and_b32_e32 v69, 31, v79
	v_lshrrev_b32_e32 v70, 1, v79
	v_lshl_add_u32 v69, v69, 4, 0
	v_and_b32_e32 v70, 0x1f0, v70
	v_fma_f64 v[34:35], v[34:35], v[100:101], -v[66:67]
	v_mul_f64 v[66:67], v[38:39], v[115:116]
	v_mul_f64 v[104:105], v[36:37], v[115:116]
	v_fma_f64 v[115:116], v[71:72], v[75:76], -v[119:120]
	v_add_u32_e32 v77, s9, v70
	ds_read_b128 v[69:72], v69 offset:32368
	ds_read_b128 v[100:103], v77 offset:512
	v_fma_f64 v[52:53], v[54:55], v[58:59], v[52:53]
	v_mul_f64 v[54:55], v[106:107], v[64:65]
	v_fma_f64 v[58:59], v[73:74], v[75:76], v[60:61]
	v_fma_f64 v[36:37], v[36:37], v[48:49], v[66:67]
	s_waitcnt lgkmcnt(0)
	v_mul_f64 v[73:74], v[71:72], v[102:103]
	v_mul_f64 v[75:76], v[69:70], v[102:103]
	v_fma_f64 v[38:39], v[38:39], v[48:49], -v[104:105]
	v_mul_f64 v[60:61], v[115:116], v[98:99]
	v_mul_f64 v[48:49], v[52:53], v[64:65]
	v_fma_f64 v[64:65], v[62:63], v[52:53], v[54:55]
	v_lshrrev_b32_e32 v52, 6, v79
	v_and_b32_e32 v52, 0x1f0, v52
	v_fma_f64 v[69:70], v[69:70], v[100:101], -v[73:74]
	v_fma_f64 v[71:72], v[71:72], v[100:101], v[75:76]
	v_add_u32_e32 v52, s9, v52
	ds_read_b128 v[52:55], v52 offset:1024
	v_add_u32_e32 v79, v79, v68
	v_mul_f64 v[66:67], v[58:59], v[98:99]
	v_fma_f64 v[77:78], v[96:97], v[58:59], v[60:61]
	v_and_b32_e32 v58, 31, v79
	v_lshl_add_u32 v58, v58, 4, 0
	s_waitcnt lgkmcnt(0)
	v_mul_f64 v[73:74], v[71:72], v[54:55]
	v_mul_f64 v[54:55], v[69:70], v[54:55]
	ds_read_b128 v[58:61], v58 offset:32368
	v_fma_f64 v[48:49], v[62:63], v[106:107], -v[48:49]
	v_mul_f64 v[75:76], v[42:43], v[64:65]
	v_mul_f64 v[117:118], v[40:41], v[64:65]
	v_fma_f64 v[66:67], v[96:97], v[115:116], -v[66:67]
	v_mul_f64 v[96:97], v[50:51], v[77:78]
	v_fma_f64 v[119:120], v[52:53], v[69:70], -v[73:74]
	v_fma_f64 v[69:70], v[52:53], v[71:72], v[54:55]
	v_lshrrev_b32_e32 v52, 1, v79
	v_and_b32_e32 v52, 0x1f0, v52
	v_add_u32_e32 v52, s9, v52
	ds_read_b128 v[62:65], v52 offset:512
	v_lshrrev_b32_e32 v52, 6, v79
	v_add_u32_e32 v79, v79, v68
	v_and_b32_e32 v52, 0x1f0, v52
	v_and_b32_e32 v73, 31, v79
	s_waitcnt lgkmcnt(0)
	v_mul_f64 v[71:72], v[60:61], v[64:65]
	v_lshrrev_b32_e32 v74, 1, v79
	v_add_u32_e32 v52, s9, v52
	v_lshl_add_u32 v73, v73, 4, 0
	v_and_b32_e32 v74, 0x1f0, v74
	ds_read_b128 v[52:55], v52 offset:1024
	v_add_u32_e32 v74, s9, v74
	ds_read_b128 v[100:103], v73 offset:32368
	ds_read_b128 v[104:107], v74 offset:512
	v_mul_f64 v[73:74], v[46:47], v[69:70]
	v_mul_f64 v[64:65], v[58:59], v[64:65]
	v_mul_f64 v[77:78], v[44:45], v[77:78]
	v_fma_f64 v[98:99], v[58:59], v[62:63], -v[71:72]
	s_waitcnt lgkmcnt(0)
	v_mul_f64 v[58:59], v[102:103], v[106:107]
	v_fma_f64 v[42:43], v[42:43], v[48:49], -v[117:118]
	v_mul_f64 v[116:117], v[56:57], v[69:70]
	v_add_u32_e32 v69, v79, v68
	v_fma_f64 v[40:41], v[40:41], v[48:49], v[75:76]
	v_fma_f64 v[48:49], v[44:45], v[66:67], v[96:97]
	;; [unrolled: 1-line block ×4, first 2 shown]
	v_lshrrev_b32_e32 v56, 6, v79
	v_lshrrev_b32_e32 v64, 1, v69
	v_add_u32_e32 v115, v69, v68
	v_and_b32_e32 v56, 0x1f0, v56
	v_and_b32_e32 v57, 31, v69
	;; [unrolled: 1-line block ×3, first 2 shown]
	v_lshrrev_b32_e32 v70, 6, v69
	v_and_b32_e32 v68, 31, v115
	v_lshrrev_b32_e32 v69, 1, v115
	v_add_u32_e32 v56, s9, v56
	v_lshl_add_u32 v60, v57, 4, 0
	v_add_u32_e32 v64, s9, v64
	v_lshl_add_u32 v68, v68, 4, 0
	v_and_b32_e32 v69, 0x1f0, v69
	v_fma_f64 v[50:51], v[50:51], v[66:67], -v[77:78]
	v_fma_f64 v[96:97], v[100:101], v[104:105], -v[58:59]
	ds_read_b128 v[56:59], v56 offset:1024
	ds_read_b128 v[60:63], v60 offset:32368
	ds_read_b128 v[64:67], v64 offset:512
	v_add_u32_e32 v69, s9, v69
	ds_read_b128 v[72:75], v68 offset:32368
	ds_read_b128 v[76:79], v69 offset:512
	v_mul_f64 v[123:124], v[98:99], v[54:55]
	v_mul_f64 v[125:126], v[100:101], v[106:107]
	s_waitcnt lgkmcnt(2)
	v_mul_f64 v[127:128], v[62:63], v[66:67]
	v_mul_f64 v[106:107], v[121:122], v[54:55]
	s_waitcnt lgkmcnt(0)
	v_mul_f64 v[129:130], v[74:75], v[78:79]
	v_mul_f64 v[66:67], v[60:61], v[66:67]
	v_and_b32_e32 v68, 0x1f0, v70
	v_add_u32_e32 v68, s9, v68
	ds_read_b128 v[68:71], v68 offset:1024
	v_fma_f64 v[46:47], v[46:47], v[119:120], -v[116:117]
	v_fma_f64 v[54:55], v[60:61], v[64:65], -v[127:128]
	v_fma_f64 v[100:101], v[52:53], v[121:122], v[123:124]
	v_fma_f64 v[60:61], v[72:73], v[76:77], -v[129:130]
	v_mul_f64 v[72:73], v[72:73], v[78:79]
	v_lshrrev_b32_e32 v78, 6, v115
	v_and_b32_e32 v78, 0x1f0, v78
	v_add_u32_e32 v78, s9, v78
	ds_read_b128 v[115:118], v78 offset:1024
	v_fma_f64 v[102:103], v[102:103], v[104:105], v[125:126]
	v_mul_f64 v[104:105], v[96:97], v[58:59]
	v_fma_f64 v[62:63], v[62:63], v[64:65], v[66:67]
	s_waitcnt lgkmcnt(1)
	v_mul_f64 v[64:65], v[54:55], v[70:71]
	v_fma_f64 v[66:67], v[52:53], v[98:99], -v[106:107]
	v_fma_f64 v[52:53], v[74:75], v[76:77], v[72:73]
	s_waitcnt lgkmcnt(0)
	v_mul_f64 v[72:73], v[60:61], v[117:118]
	v_mul_f64 v[76:77], v[94:95], v[100:101]
	;; [unrolled: 1-line block ×3, first 2 shown]
	v_fma_f64 v[74:75], v[56:57], v[102:103], v[104:105]
	v_mul_f64 v[70:71], v[62:63], v[70:71]
	v_fma_f64 v[62:63], v[68:69], v[62:63], v[64:65]
	v_mul_f64 v[64:65], v[92:93], v[100:101]
	v_mul_f64 v[78:79], v[52:53], v[117:118]
	v_fma_f64 v[52:53], v[115:116], v[52:53], v[72:73]
	v_fma_f64 v[58:59], v[56:57], v[96:97], -v[58:59]
	v_mul_f64 v[56:57], v[90:91], v[74:75]
	v_mul_f64 v[72:73], v[88:89], v[74:75]
	v_fma_f64 v[68:69], v[68:69], v[54:55], -v[70:71]
	v_mul_f64 v[70:71], v[86:87], v[62:63]
	v_mul_f64 v[62:63], v[84:85], v[62:63]
	;; [unrolled: 3-line block ×3, first 2 shown]
	v_fma_f64 v[52:53], v[92:93], v[66:67], v[76:77]
	v_fma_f64 v[54:55], v[94:95], v[66:67], -v[64:65]
	v_fma_f64 v[56:57], v[88:89], v[58:59], v[56:57]
	v_fma_f64 v[58:59], v[90:91], v[58:59], -v[72:73]
	;; [unrolled: 2-line block ×4, first 2 shown]
	s_barrier
	ds_write_b128 v114, v[0:3]
	ds_write_b128 v114, v[4:7] offset:272
	ds_write_b128 v114, v[8:11] offset:544
	;; [unrolled: 1-line block ×16, first 2 shown]
	s_waitcnt lgkmcnt(0)
	s_barrier
	s_and_saveexec_b64 s[6:7], s[0:1]
	s_cbranch_execz .LBB0_18
; %bb.17:
	s_mul_i32 s5, s5, s8
	s_mul_hi_u32 s6, s4, s8
	v_mad_u64_u32 v[0:1], s[0:1], s18, v112, 0
	s_add_i32 s1, s6, s5
	v_mad_u64_u32 v[2:3], s[6:7], s16, v108, 0
	s_movk_i32 s0, 0x1210
	v_add_u32_e32 v18, 0x44, v108
	v_mad_u64_u32 v[4:5], s[6:7], s19, v112, v[1:2]
	v_mov_b32_e32 v1, v3
	v_mad_u64_u32 v[5:6], s[6:7], s17, v108, v[1:2]
	v_mul_lo_u32 v6, v112, s0
	s_mul_i32 s0, s4, s8
	s_lshl_b64 s[0:1], s[0:1], 4
	s_add_u32 s4, s22, s0
	v_mov_b32_e32 v1, v4
	s_addc_u32 s5, s23, s1
	s_lshl_b64 s[0:1], s[2:3], 4
	s_add_u32 s0, s4, s0
	v_lshlrev_b64 v[0:1], 4, v[0:1]
	s_addc_u32 s1, s5, s1
	v_mov_b32_e32 v4, s1
	v_add_co_u32_e32 v16, vcc, s0, v0
	v_mad_u64_u32 v[8:9], s[0:1], s16, v111, 0
	v_mov_b32_e32 v3, v5
	v_addc_co_u32_e32 v17, vcc, v4, v1, vcc
	v_lshlrev_b64 v[0:1], 4, v[2:3]
	v_add3_u32 v15, 0, v6, v113
	v_add_co_u32_e32 v10, vcc, v16, v0
	v_mov_b32_e32 v4, v9
	v_addc_co_u32_e32 v11, vcc, v17, v1, vcc
	ds_read_b128 v[0:3], v15
	v_mad_u64_u32 v[12:13], s[0:1], s17, v111, v[4:5]
	ds_read_b128 v[4:7], v15 offset:272
	v_mad_u64_u32 v[13:14], s[0:1], s16, v110, 0
	s_waitcnt lgkmcnt(1)
	global_store_dwordx4 v[10:11], v[0:3], off
	v_mov_b32_e32 v9, v12
	v_mov_b32_e32 v2, v14
	v_mad_u64_u32 v[2:3], s[0:1], s17, v110, v[2:3]
	v_lshlrev_b64 v[0:1], 4, v[8:9]
	v_mad_u64_u32 v[8:9], s[0:1], s16, v109, 0
	v_add_co_u32_e32 v0, vcc, v16, v0
	v_addc_co_u32_e32 v1, vcc, v17, v1, vcc
	v_mov_b32_e32 v14, v2
	s_waitcnt lgkmcnt(0)
	global_store_dwordx4 v[0:1], v[4:7], off
	v_lshlrev_b64 v[0:1], 4, v[13:14]
	v_add_co_u32_e32 v10, vcc, v16, v0
	v_mov_b32_e32 v0, v9
	v_mad_u64_u32 v[12:13], s[0:1], s17, v109, v[0:1]
	v_addc_co_u32_e32 v11, vcc, v17, v1, vcc
	ds_read_b128 v[0:3], v15 offset:544
	ds_read_b128 v[4:7], v15 offset:816
	v_mad_u64_u32 v[13:14], s[0:1], s16, v18, 0
	v_mov_b32_e32 v9, v12
	s_waitcnt lgkmcnt(1)
	global_store_dwordx4 v[10:11], v[0:3], off
	s_nop 0
	v_mov_b32_e32 v2, v14
	v_mad_u64_u32 v[2:3], s[0:1], s17, v18, v[2:3]
	v_lshlrev_b64 v[0:1], 4, v[8:9]
	v_add_u32_e32 v18, 0x66, v108
	v_mov_b32_e32 v14, v2
	v_add_u32_e32 v2, 0x55, v108
	v_add_co_u32_e32 v0, vcc, v16, v0
	v_mad_u64_u32 v[8:9], s[0:1], s16, v2, 0
	v_addc_co_u32_e32 v1, vcc, v17, v1, vcc
	s_waitcnt lgkmcnt(0)
	global_store_dwordx4 v[0:1], v[4:7], off
	v_lshlrev_b64 v[0:1], 4, v[13:14]
	v_add_co_u32_e32 v10, vcc, v16, v0
	v_mov_b32_e32 v0, v9
	v_mad_u64_u32 v[12:13], s[0:1], s17, v2, v[0:1]
	v_addc_co_u32_e32 v11, vcc, v17, v1, vcc
	ds_read_b128 v[0:3], v15 offset:1088
	ds_read_b128 v[4:7], v15 offset:1360
	v_mad_u64_u32 v[13:14], s[0:1], s16, v18, 0
	v_mov_b32_e32 v9, v12
	s_waitcnt lgkmcnt(1)
	global_store_dwordx4 v[10:11], v[0:3], off
	s_nop 0
	v_mov_b32_e32 v2, v14
	v_mad_u64_u32 v[2:3], s[0:1], s17, v18, v[2:3]
	v_lshlrev_b64 v[0:1], 4, v[8:9]
	v_add_u32_e32 v18, 0x88, v108
	v_mov_b32_e32 v14, v2
	v_add_u32_e32 v2, 0x77, v108
	v_add_co_u32_e32 v0, vcc, v16, v0
	v_mad_u64_u32 v[8:9], s[0:1], s16, v2, 0
	v_addc_co_u32_e32 v1, vcc, v17, v1, vcc
	;; [unrolled: 23-line block ×6, first 2 shown]
	s_waitcnt lgkmcnt(0)
	global_store_dwordx4 v[0:1], v[4:7], off
	v_lshlrev_b64 v[0:1], 4, v[13:14]
	v_add_co_u32_e32 v10, vcc, v16, v0
	v_mov_b32_e32 v0, v9
	v_mad_u64_u32 v[12:13], s[0:1], s17, v2, v[0:1]
	v_addc_co_u32_e32 v11, vcc, v17, v1, vcc
	ds_read_b128 v[0:3], v15 offset:3808
	ds_read_b128 v[4:7], v15 offset:4080
	v_mad_u64_u32 v[13:14], s[0:1], s16, v18, 0
	v_mov_b32_e32 v9, v12
	s_waitcnt lgkmcnt(1)
	global_store_dwordx4 v[10:11], v[0:3], off
	s_nop 0
	v_mov_b32_e32 v2, v14
	v_lshlrev_b64 v[0:1], 4, v[8:9]
	v_mad_u64_u32 v[2:3], s[0:1], s17, v18, v[2:3]
	v_add_co_u32_e32 v0, vcc, v16, v0
	v_addc_co_u32_e32 v1, vcc, v17, v1, vcc
	s_waitcnt lgkmcnt(0)
	global_store_dwordx4 v[0:1], v[4:7], off
	v_mov_b32_e32 v14, v2
	ds_read_b128 v[0:3], v15 offset:4352
	v_lshlrev_b64 v[4:5], 4, v[13:14]
	v_add_co_u32_e32 v4, vcc, v16, v4
	v_addc_co_u32_e32 v5, vcc, v17, v5, vcc
	s_waitcnt lgkmcnt(0)
	global_store_dwordx4 v[4:5], v[0:3], off
.LBB0_18:
	s_endpgm
	.section	.rodata,"a",@progbits
	.p2align	6, 0x0
	.amdhsa_kernel fft_rtc_back_len289_factors_17_17_wgs_119_tpt_17_dp_op_CI_CI_sbcc_twdbase5_3step
		.amdhsa_group_segment_fixed_size 0
		.amdhsa_private_segment_fixed_size 0
		.amdhsa_kernarg_size 112
		.amdhsa_user_sgpr_count 6
		.amdhsa_user_sgpr_private_segment_buffer 1
		.amdhsa_user_sgpr_dispatch_ptr 0
		.amdhsa_user_sgpr_queue_ptr 0
		.amdhsa_user_sgpr_kernarg_segment_ptr 1
		.amdhsa_user_sgpr_dispatch_id 0
		.amdhsa_user_sgpr_flat_scratch_init 0
		.amdhsa_user_sgpr_private_segment_size 0
		.amdhsa_uses_dynamic_stack 0
		.amdhsa_system_sgpr_private_segment_wavefront_offset 0
		.amdhsa_system_sgpr_workgroup_id_x 1
		.amdhsa_system_sgpr_workgroup_id_y 0
		.amdhsa_system_sgpr_workgroup_id_z 0
		.amdhsa_system_sgpr_workgroup_info 0
		.amdhsa_system_vgpr_workitem_id 0
		.amdhsa_next_free_vgpr 159
		.amdhsa_next_free_sgpr 66
		.amdhsa_reserve_vcc 1
		.amdhsa_reserve_flat_scratch 0
		.amdhsa_float_round_mode_32 0
		.amdhsa_float_round_mode_16_64 0
		.amdhsa_float_denorm_mode_32 3
		.amdhsa_float_denorm_mode_16_64 3
		.amdhsa_dx10_clamp 1
		.amdhsa_ieee_mode 1
		.amdhsa_fp16_overflow 0
		.amdhsa_exception_fp_ieee_invalid_op 0
		.amdhsa_exception_fp_denorm_src 0
		.amdhsa_exception_fp_ieee_div_zero 0
		.amdhsa_exception_fp_ieee_overflow 0
		.amdhsa_exception_fp_ieee_underflow 0
		.amdhsa_exception_fp_ieee_inexact 0
		.amdhsa_exception_int_div_zero 0
	.end_amdhsa_kernel
	.text
.Lfunc_end0:
	.size	fft_rtc_back_len289_factors_17_17_wgs_119_tpt_17_dp_op_CI_CI_sbcc_twdbase5_3step, .Lfunc_end0-fft_rtc_back_len289_factors_17_17_wgs_119_tpt_17_dp_op_CI_CI_sbcc_twdbase5_3step
                                        ; -- End function
	.section	.AMDGPU.csdata,"",@progbits
; Kernel info:
; codeLenInByte = 20532
; NumSgprs: 70
; NumVgprs: 159
; ScratchSize: 0
; MemoryBound: 0
; FloatMode: 240
; IeeeMode: 1
; LDSByteSize: 0 bytes/workgroup (compile time only)
; SGPRBlocks: 8
; VGPRBlocks: 39
; NumSGPRsForWavesPerEU: 70
; NumVGPRsForWavesPerEU: 159
; Occupancy: 1
; WaveLimiterHint : 1
; COMPUTE_PGM_RSRC2:SCRATCH_EN: 0
; COMPUTE_PGM_RSRC2:USER_SGPR: 6
; COMPUTE_PGM_RSRC2:TRAP_HANDLER: 0
; COMPUTE_PGM_RSRC2:TGID_X_EN: 1
; COMPUTE_PGM_RSRC2:TGID_Y_EN: 0
; COMPUTE_PGM_RSRC2:TGID_Z_EN: 0
; COMPUTE_PGM_RSRC2:TIDIG_COMP_CNT: 0
	.type	__hip_cuid_80169a4c308fb861,@object ; @__hip_cuid_80169a4c308fb861
	.section	.bss,"aw",@nobits
	.globl	__hip_cuid_80169a4c308fb861
__hip_cuid_80169a4c308fb861:
	.byte	0                               ; 0x0
	.size	__hip_cuid_80169a4c308fb861, 1

	.ident	"AMD clang version 19.0.0git (https://github.com/RadeonOpenCompute/llvm-project roc-6.4.0 25133 c7fe45cf4b819c5991fe208aaa96edf142730f1d)"
	.section	".note.GNU-stack","",@progbits
	.addrsig
	.addrsig_sym __hip_cuid_80169a4c308fb861
	.amdgpu_metadata
---
amdhsa.kernels:
  - .args:
      - .actual_access:  read_only
        .address_space:  global
        .offset:         0
        .size:           8
        .value_kind:     global_buffer
      - .address_space:  global
        .offset:         8
        .size:           8
        .value_kind:     global_buffer
      - .offset:         16
        .size:           8
        .value_kind:     by_value
      - .actual_access:  read_only
        .address_space:  global
        .offset:         24
        .size:           8
        .value_kind:     global_buffer
      - .actual_access:  read_only
        .address_space:  global
        .offset:         32
        .size:           8
        .value_kind:     global_buffer
      - .actual_access:  read_only
        .address_space:  global
        .offset:         40
        .size:           8
        .value_kind:     global_buffer
      - .offset:         48
        .size:           8
        .value_kind:     by_value
      - .actual_access:  read_only
        .address_space:  global
        .offset:         56
        .size:           8
        .value_kind:     global_buffer
      - .actual_access:  read_only
        .address_space:  global
        .offset:         64
        .size:           8
        .value_kind:     global_buffer
      - .offset:         72
        .size:           4
        .value_kind:     by_value
      - .actual_access:  read_only
        .address_space:  global
        .offset:         80
        .size:           8
        .value_kind:     global_buffer
      - .actual_access:  read_only
        .address_space:  global
        .offset:         88
        .size:           8
        .value_kind:     global_buffer
      - .actual_access:  read_only
        .address_space:  global
        .offset:         96
        .size:           8
        .value_kind:     global_buffer
      - .actual_access:  write_only
        .address_space:  global
        .offset:         104
        .size:           8
        .value_kind:     global_buffer
    .group_segment_fixed_size: 0
    .kernarg_segment_align: 8
    .kernarg_segment_size: 112
    .language:       OpenCL C
    .language_version:
      - 2
      - 0
    .max_flat_workgroup_size: 119
    .name:           fft_rtc_back_len289_factors_17_17_wgs_119_tpt_17_dp_op_CI_CI_sbcc_twdbase5_3step
    .private_segment_fixed_size: 0
    .sgpr_count:     70
    .sgpr_spill_count: 0
    .symbol:         fft_rtc_back_len289_factors_17_17_wgs_119_tpt_17_dp_op_CI_CI_sbcc_twdbase5_3step.kd
    .uniform_work_group_size: 1
    .uses_dynamic_stack: false
    .vgpr_count:     159
    .vgpr_spill_count: 0
    .wavefront_size: 64
amdhsa.target:   amdgcn-amd-amdhsa--gfx906
amdhsa.version:
  - 1
  - 2
...

	.end_amdgpu_metadata
